;; amdgpu-corpus repo=ROCm/rocFFT kind=compiled arch=gfx1030 opt=O3
	.text
	.amdgcn_target "amdgcn-amd-amdhsa--gfx1030"
	.amdhsa_code_object_version 6
	.protected	bluestein_single_fwd_len1540_dim1_sp_op_CI_CI ; -- Begin function bluestein_single_fwd_len1540_dim1_sp_op_CI_CI
	.globl	bluestein_single_fwd_len1540_dim1_sp_op_CI_CI
	.p2align	8
	.type	bluestein_single_fwd_len1540_dim1_sp_op_CI_CI,@function
bluestein_single_fwd_len1540_dim1_sp_op_CI_CI: ; @bluestein_single_fwd_len1540_dim1_sp_op_CI_CI
; %bb.0:
	s_load_dwordx4 s[0:3], s[4:5], 0x28
	v_mul_u32_u24_e32 v1, 0x1aa, v0
	v_mov_b32_e32 v61, 0
	v_lshrrev_b32_e32 v1, 16, v1
	v_add_nc_u32_e32 v60, s6, v1
	s_waitcnt lgkmcnt(0)
	v_cmp_gt_u64_e32 vcc_lo, s[0:1], v[60:61]
	s_and_saveexec_b32 s0, vcc_lo
	s_cbranch_execz .LBB0_23
; %bb.1:
	s_clause 0x1
	s_load_dwordx2 s[14:15], s[4:5], 0x0
	s_load_dwordx2 s[12:13], s[4:5], 0x38
	v_mul_lo_u16 v1, 0x9a, v1
	v_sub_nc_u16 v0, v0, v1
	v_and_b32_e32 v84, 0xffff, v0
	v_cmp_gt_u16_e32 vcc_lo, 0x8c, v0
	v_lshlrev_b32_e32 v83, 3, v84
	s_and_saveexec_b32 s1, vcc_lo
	s_cbranch_execz .LBB0_3
; %bb.2:
	s_load_dwordx2 s[6:7], s[4:5], 0x18
	s_waitcnt lgkmcnt(0)
	v_add_co_u32 v19, s0, s14, v83
	v_add_co_ci_u32_e64 v20, null, s15, 0, s0
	v_add_nc_u32_e32 v46, 0x800, v83
	v_add_co_u32 v6, s0, 0x800, v19
	v_add_co_ci_u32_e64 v7, s0, 0, v20, s0
	v_add_co_u32 v8, s0, 0x1000, v19
	v_add_co_ci_u32_e64 v9, s0, 0, v20, s0
	;; [unrolled: 2-line block ×3, first 2 shown]
	v_add_nc_u32_e32 v47, 0x1000, v83
	v_add_nc_u32_e32 v48, 0x1800, v83
	s_load_dwordx4 s[8:11], s[6:7], 0x0
	s_clause 0x1
	global_load_dwordx2 v[0:1], v83, s[14:15]
	global_load_dwordx2 v[2:3], v83, s[14:15] offset:1120
	v_add_nc_u32_e32 v49, 0x2000, v83
	s_waitcnt lgkmcnt(0)
	v_mad_u64_u32 v[4:5], null, s10, v60, 0
	v_mad_u64_u32 v[10:11], null, s8, v84, 0
	s_mul_i32 s6, s9, 0x460
	s_mul_hi_u32 s7, s8, 0x460
	s_add_i32 s7, s7, s6
	v_mad_u64_u32 v[14:15], null, s11, v60, v[5:6]
	v_mov_b32_e32 v5, v11
	v_add_co_u32 v15, s0, 0x2000, v19
	v_add_co_ci_u32_e64 v16, s0, 0, v20, s0
	v_mad_u64_u32 v[17:18], null, s9, v84, v[5:6]
	v_mov_b32_e32 v5, v14
	v_add_co_u32 v18, s0, 0x2800, v19
	v_add_co_ci_u32_e64 v19, s0, 0, v20, s0
	v_lshlrev_b64 v[4:5], 3, v[4:5]
	v_mov_b32_e32 v11, v17
	s_clause 0x6
	global_load_dwordx2 v[20:21], v[6:7], off offset:192
	global_load_dwordx2 v[6:7], v[6:7], off offset:1312
	;; [unrolled: 1-line block ×7, first 2 shown]
	v_lshlrev_b64 v[10:11], 3, v[10:11]
	v_add_co_u32 v4, s0, s2, v4
	v_add_co_ci_u32_e64 v5, s0, s3, v5, s0
	s_mul_i32 s2, s8, 0x460
	v_add_co_u32 v4, s0, v4, v10
	v_add_co_ci_u32_e64 v5, s0, v5, v11, s0
	v_add_co_u32 v10, s0, v4, s2
	v_add_co_ci_u32_e64 v11, s0, s7, v5, s0
	;; [unrolled: 2-line block ×3, first 2 shown]
	s_clause 0x1
	global_load_dwordx2 v[4:5], v[4:5], off
	global_load_dwordx2 v[10:11], v[10:11], off
	v_add_co_u32 v30, s0, v26, s2
	v_add_co_ci_u32_e64 v31, s0, s7, v27, s0
	global_load_dwordx2 v[26:27], v[26:27], off
	v_add_co_u32 v32, s0, v30, s2
	v_add_co_ci_u32_e64 v33, s0, s7, v31, s0
	v_add_co_u32 v34, s0, v32, s2
	v_add_co_ci_u32_e64 v35, s0, s7, v33, s0
	s_clause 0x1
	global_load_dwordx2 v[30:31], v[30:31], off
	global_load_dwordx2 v[32:33], v[32:33], off
	v_add_co_u32 v36, s0, v34, s2
	v_add_co_ci_u32_e64 v37, s0, s7, v35, s0
	global_load_dwordx2 v[34:35], v[34:35], off
	v_add_co_u32 v38, s0, v36, s2
	v_add_co_ci_u32_e64 v39, s0, s7, v37, s0
	;; [unrolled: 3-line block ×5, first 2 shown]
	global_load_dwordx2 v[14:15], v[15:16], off offset:1888
	global_load_dwordx2 v[16:17], v[42:43], off
	global_load_dwordx2 v[18:19], v[18:19], off offset:960
	global_load_dwordx2 v[42:43], v[44:45], off
	s_waitcnt vmcnt(12)
	v_mul_f32_e32 v44, v5, v1
	v_mul_f32_e32 v45, v4, v1
	s_waitcnt vmcnt(11)
	v_mul_f32_e32 v1, v11, v3
	v_mul_f32_e32 v3, v10, v3
	v_fmac_f32_e32 v44, v4, v0
	v_fma_f32 v45, v5, v0, -v45
	v_fmac_f32_e32 v1, v10, v2
	v_fma_f32 v2, v11, v2, -v3
	s_waitcnt vmcnt(10)
	v_mul_f32_e32 v4, v26, v21
	v_mul_f32_e32 v0, v27, v21
	ds_write2_b64 v83, v[44:45], v[1:2] offset1:140
	v_fma_f32 v1, v27, v20, -v4
	s_waitcnt vmcnt(9)
	v_mul_f32_e32 v2, v30, v7
	v_mul_f32_e32 v3, v31, v7
	s_waitcnt vmcnt(8)
	v_mul_f32_e32 v5, v33, v23
	v_mul_f32_e32 v10, v32, v23
	v_fmac_f32_e32 v0, v26, v20
	v_fma_f32 v4, v31, v6, -v2
	s_waitcnt vmcnt(7)
	v_mul_f32_e32 v7, v35, v9
	v_mul_f32_e32 v2, v34, v9
	v_fmac_f32_e32 v3, v30, v6
	v_fmac_f32_e32 v5, v32, v22
	v_fma_f32 v6, v33, v22, -v10
	v_fmac_f32_e32 v7, v34, v8
	v_fma_f32 v8, v35, v8, -v2
	s_waitcnt vmcnt(6)
	v_mul_f32_e32 v2, v36, v25
	v_mul_f32_e32 v9, v37, v25
	s_waitcnt vmcnt(5)
	v_mul_f32_e32 v11, v39, v13
	v_mul_f32_e32 v13, v38, v13
	v_fma_f32 v10, v37, v24, -v2
	v_fmac_f32_e32 v9, v36, v24
	s_waitcnt vmcnt(4)
	v_mul_f32_e32 v20, v41, v29
	v_fmac_f32_e32 v11, v38, v12
	v_fma_f32 v12, v39, v12, -v13
	v_mul_f32_e32 v2, v40, v29
	s_waitcnt vmcnt(2)
	v_mul_f32_e32 v13, v17, v15
	v_mul_f32_e32 v22, v16, v15
	s_waitcnt vmcnt(0)
	v_mul_f32_e32 v15, v43, v19
	v_mul_f32_e32 v19, v42, v19
	v_fmac_f32_e32 v20, v40, v28
	v_fma_f32 v21, v41, v28, -v2
	v_fmac_f32_e32 v13, v16, v14
	v_fma_f32 v14, v17, v14, -v22
	;; [unrolled: 2-line block ×3, first 2 shown]
	ds_write2_b64 v46, v[0:1], v[3:4] offset0:24 offset1:164
	ds_write2_b64 v47, v[5:6], v[7:8] offset0:48 offset1:188
	;; [unrolled: 1-line block ×4, first 2 shown]
	ds_write_b64 v83, v[15:16] offset:11200
.LBB0_3:
	s_or_b32 exec_lo, exec_lo, s1
	s_clause 0x1
	s_load_dwordx2 s[0:1], s[4:5], 0x20
	s_load_dwordx2 s[2:3], s[4:5], 0x8
	v_mov_b32_e32 v12, 0
	v_mov_b32_e32 v13, 0
	s_waitcnt lgkmcnt(0)
	s_barrier
	buffer_gl0_inv
                                        ; implicit-def: $vgpr20
                                        ; implicit-def: $vgpr2
                                        ; implicit-def: $vgpr6
                                        ; implicit-def: $vgpr10
                                        ; implicit-def: $vgpr18
                                        ; kill: def $vgpr0 killed $sgpr0 killed $exec
	s_and_saveexec_b32 s4, vcc_lo
	s_cbranch_execz .LBB0_5
; %bb.4:
	v_add_nc_u32_e32 v0, 0x800, v83
	v_add_nc_u32_e32 v1, 0x1000, v83
	;; [unrolled: 1-line block ×4, first 2 shown]
	ds_read2_b64 v[12:15], v83 offset1:140
	ds_read2_b64 v[16:19], v0 offset0:24 offset1:164
	ds_read2_b64 v[8:11], v1 offset0:48 offset1:188
	;; [unrolled: 1-line block ×4, first 2 shown]
	ds_read_b64 v[20:21], v83 offset:11200
.LBB0_5:
	s_or_b32 exec_lo, exec_lo, s4
	s_waitcnt lgkmcnt(0)
	v_sub_f32_e32 v50, v15, v21
	v_sub_f32_e32 v51, v14, v20
	v_add_f32_e32 v48, v20, v14
	v_add_f32_e32 v53, v21, v15
	v_sub_f32_e32 v44, v17, v3
	v_mul_f32_e32 v49, 0xbf0a6770, v50
	v_mul_f32_e32 v52, 0xbf0a6770, v51
	v_sub_f32_e32 v37, v16, v2
	v_add_f32_e32 v25, v2, v16
	v_mul_f32_e32 v22, 0xbf68dda4, v44
	v_fmamk_f32 v23, v48, 0x3f575c64, v49
	v_fma_f32 v26, 0x3f575c64, v53, -v52
	v_add_f32_e32 v29, v3, v17
	v_mul_f32_e32 v24, 0xbf68dda4, v37
	v_sub_f32_e32 v45, v19, v1
	v_add_f32_e32 v27, v23, v12
	v_add_f32_e32 v26, v26, v13
	v_fmamk_f32 v30, v25, 0x3ed4b147, v22
	v_sub_f32_e32 v40, v18, v0
	v_fma_f32 v31, 0x3ed4b147, v29, -v24
	v_add_f32_e32 v32, v0, v18
	v_mul_f32_e32 v23, 0xbf7d64f0, v45
	v_add_f32_e32 v33, v1, v19
	v_mul_f32_e32 v28, 0xbf7d64f0, v40
	v_add_f32_e32 v27, v30, v27
	v_add_f32_e32 v26, v31, v26
	v_sub_f32_e32 v46, v9, v7
	v_fmamk_f32 v31, v32, 0xbe11bafb, v23
	v_sub_f32_e32 v41, v8, v6
	v_fma_f32 v34, 0xbe11bafb, v33, -v28
	v_add_f32_e32 v36, v6, v8
	v_mul_f32_e32 v30, 0xbf4178ce, v46
	v_add_f32_e32 v27, v31, v27
	v_add_f32_e32 v38, v7, v9
	v_mul_f32_e32 v31, 0xbf4178ce, v41
	v_sub_f32_e32 v47, v11, v5
	v_sub_f32_e32 v43, v10, v4
	v_add_f32_e32 v26, v34, v26
	v_fmamk_f32 v54, v36, 0xbf27a4f4, v30
	v_fma_f32 v55, 0xbf27a4f4, v38, -v31
	v_add_f32_e32 v39, v4, v10
	v_add_f32_e32 v42, v5, v11
	v_mul_f32_e32 v34, 0xbe903f40, v47
	v_mul_f32_e32 v35, 0xbe903f40, v43
	v_add_f32_e32 v27, v54, v27
	v_add_f32_e32 v54, v55, v26
	v_mul_lo_u16 v86, v84, 11
	v_fmamk_f32 v26, v39, 0xbf75a155, v34
	v_fma_f32 v55, 0xbf75a155, v42, -v35
	s_barrier
	buffer_gl0_inv
	v_add_f32_e32 v26, v26, v27
	v_add_f32_e32 v27, v55, v54
	s_and_saveexec_b32 s4, vcc_lo
	s_cbranch_execz .LBB0_7
; %bb.6:
	v_add_f32_e32 v14, v14, v12
	v_add_f32_e32 v15, v15, v13
	v_mul_f32_e32 v54, 0xbf27a4f4, v53
	v_mul_f32_e32 v55, 0xbf75a155, v53
	;; [unrolled: 1-line block ×3, first 2 shown]
	v_add_f32_e32 v14, v16, v14
	v_add_f32_e32 v15, v17, v15
	v_mul_f32_e32 v16, 0xbe11bafb, v53
	v_fmamk_f32 v17, v51, 0x3f4178ce, v54
	v_fmamk_f32 v56, v51, 0x3e903f40, v55
	v_add_f32_e32 v14, v18, v14
	v_mul_f32_e32 v18, 0x3ed4b147, v53
	v_mul_f32_e32 v53, 0x3f575c64, v53
	v_add_f32_e32 v15, v19, v15
	v_fmac_f32_e32 v55, 0xbe903f40, v51
	v_fmac_f32_e32 v54, 0xbf4178ce, v51
	v_fmamk_f32 v19, v51, 0x3f7d64f0, v16
	v_fmac_f32_e32 v16, 0xbf7d64f0, v51
	v_fmamk_f32 v57, v51, 0x3f68dda4, v18
	v_fmac_f32_e32 v18, 0xbf68dda4, v51
	v_mul_f32_e32 v51, 0xbe903f40, v50
	v_add_f32_e32 v52, v52, v53
	v_mul_f32_e32 v53, 0xbf4178ce, v50
	v_mul_f32_e32 v50, 0xbf7d64f0, v50
	;; [unrolled: 1-line block ×3, first 2 shown]
	v_fmamk_f32 v64, v48, 0x3ed4b147, v58
	v_fmamk_f32 v59, v48, 0xbf75a155, v51
	v_fma_f32 v51, 0xbf75a155, v48, -v51
	v_fmamk_f32 v63, v48, 0xbe11bafb, v50
	v_sub_f32_e32 v49, v62, v49
	v_fmamk_f32 v61, v48, 0xbf27a4f4, v53
	v_fma_f32 v53, 0xbf27a4f4, v48, -v53
	v_fma_f32 v50, 0xbe11bafb, v48, -v50
	v_add_f32_e32 v62, v63, v12
	v_mul_f32_e32 v63, 0xbf27a4f4, v29
	v_fma_f32 v48, 0x3ed4b147, v48, -v58
	v_add_f32_e32 v57, v57, v13
	v_add_f32_e32 v58, v64, v12
	;; [unrolled: 1-line block ×10, first 2 shown]
	v_fmamk_f32 v13, v37, 0x3f4178ce, v63
	v_mul_f32_e32 v64, 0xbf75a155, v33
	v_mul_f32_e32 v65, 0xbf4178ce, v44
	v_add_f32_e32 v61, v61, v12
	v_add_f32_e32 v59, v59, v12
	;; [unrolled: 1-line block ×9, first 2 shown]
	v_fmamk_f32 v13, v40, 0xbe903f40, v64
	v_fmamk_f32 v15, v25, 0xbf27a4f4, v65
	v_mul_f32_e32 v57, 0x3e903f40, v45
	v_add_f32_e32 v8, v8, v14
	v_mul_f32_e32 v66, 0xbe11bafb, v38
	v_add_f32_e32 v12, v13, v12
	v_add_f32_e32 v13, v15, v58
	v_fmamk_f32 v14, v32, 0xbf75a155, v57
	v_mul_f32_e32 v58, 0x3f7d64f0, v46
	v_fmamk_f32 v15, v41, 0xbf7d64f0, v66
	v_mul_f32_e32 v67, 0x3f575c64, v42
	v_add_f32_e32 v68, v11, v9
	v_add_f32_e32 v9, v14, v13
	v_fmamk_f32 v11, v36, 0xbe11bafb, v58
	v_mul_f32_e32 v69, 0xbe11bafb, v29
	v_mul_f32_e32 v71, 0x3f7d64f0, v44
	v_add_f32_e32 v12, v15, v12
	v_fmamk_f32 v13, v43, 0xbf0a6770, v67
	v_add_f32_e32 v70, v10, v8
	v_add_f32_e32 v8, v11, v9
	v_fmamk_f32 v10, v37, 0xbf7d64f0, v69
	v_mul_f32_e32 v72, 0x3f575c64, v33
	v_mul_f32_e32 v73, 0x3f0a6770, v47
	v_fmamk_f32 v11, v25, 0xbe11bafb, v71
	v_mul_f32_e32 v74, 0xbf0a6770, v45
	v_add_f32_e32 v9, v13, v12
	v_add_f32_e32 v10, v10, v17
	v_fmamk_f32 v12, v40, 0x3f0a6770, v72
	v_mul_f32_e32 v17, 0xbf75a155, v38
	v_add_f32_e32 v11, v11, v61
	v_fmamk_f32 v13, v32, 0x3f575c64, v74
	v_mul_f32_e32 v61, 0xbe903f40, v46
	v_fmamk_f32 v14, v39, 0x3f575c64, v73
	v_add_f32_e32 v10, v12, v10
	v_fmamk_f32 v12, v41, 0x3e903f40, v17
	v_add_f32_e32 v11, v13, v11
	v_fmamk_f32 v13, v36, 0xbf75a155, v61
	v_mul_f32_e32 v75, 0x3ed4b147, v42
	v_add_f32_e32 v8, v14, v8
	v_mul_f32_e32 v14, 0x3f575c64, v29
	v_add_f32_e32 v10, v12, v10
	v_add_f32_e32 v12, v13, v11
	v_fmamk_f32 v11, v43, 0xbf68dda4, v75
	v_mul_f32_e32 v76, 0x3f68dda4, v47
	v_fmamk_f32 v77, v37, 0xbf0a6770, v14
	v_fmac_f32_e32 v14, 0x3f0a6770, v37
	v_mul_f32_e32 v13, 0xbf27a4f4, v33
	v_mul_f32_e32 v78, 0x3f0a6770, v44
	v_add_f32_e32 v11, v11, v10
	v_fmamk_f32 v10, v39, 0x3ed4b147, v76
	v_add_f32_e32 v14, v14, v55
	v_fmamk_f32 v55, v40, 0x3f4178ce, v13
	v_fmac_f32_e32 v13, 0xbf4178ce, v40
	v_fma_f32 v15, 0x3f575c64, v25, -v78
	v_mul_f32_e32 v79, 0xbf4178ce, v45
	v_add_f32_e32 v10, v10, v12
	v_mul_f32_e32 v12, 0x3ed4b147, v38
	v_add_f32_e32 v13, v13, v14
	v_add_f32_e32 v14, v15, v51
	v_fma_f32 v15, 0xbf27a4f4, v32, -v79
	v_mul_f32_e32 v51, 0x3f68dda4, v46
	v_fmamk_f32 v80, v41, 0xbf68dda4, v12
	v_fmac_f32_e32 v12, 0x3f68dda4, v41
	v_mul_f32_e32 v81, 0xbe11bafb, v42
	v_add_f32_e32 v14, v15, v14
	v_fma_f32 v15, 0x3ed4b147, v36, -v51
	v_mul_f32_e32 v82, 0xbf75a155, v29
	v_add_f32_e32 v12, v12, v13
	v_fmamk_f32 v85, v43, 0x3f7d64f0, v81
	v_fmac_f32_e32 v81, 0xbf7d64f0, v43
	v_add_f32_e32 v14, v15, v14
	v_fmamk_f32 v87, v37, 0xbe903f40, v82
	v_fmac_f32_e32 v82, 0x3e903f40, v37
	v_mul_f32_e32 v15, 0x3ed4b147, v33
	v_mul_f32_e32 v44, 0x3e903f40, v44
	v_add_f32_e32 v13, v81, v12
	v_mul_f32_e32 v45, 0x3f68dda4, v45
	v_add_f32_e32 v12, v82, v16
	v_fmamk_f32 v16, v40, 0xbf68dda4, v15
	v_fmac_f32_e32 v15, 0x3f68dda4, v40
	v_fma_f32 v82, 0xbf75a155, v25, -v44
	v_mul_f32_e32 v46, 0xbf0a6770, v46
	v_mul_f32_e32 v81, 0xbf7d64f0, v47
	;; [unrolled: 1-line block ×3, first 2 shown]
	v_add_f32_e32 v12, v15, v12
	v_add_f32_e32 v15, v82, v50
	v_fma_f32 v50, 0x3ed4b147, v32, -v45
	v_mul_f32_e32 v47, 0xbf4178ce, v47
	v_fma_f32 v88, 0xbe11bafb, v39, -v81
	v_fmamk_f32 v82, v41, 0x3f0a6770, v89
	v_fmac_f32_e32 v89, 0xbf0a6770, v41
	v_add_f32_e32 v15, v50, v15
	v_fma_f32 v50, 0x3f575c64, v36, -v46
	v_fma_f32 v92, 0xbf27a4f4, v39, -v47
	v_fmamk_f32 v44, v25, 0xbf75a155, v44
	v_add_f32_e32 v89, v89, v12
	v_add_f32_e32 v12, v88, v14
	;; [unrolled: 1-line block ×5, first 2 shown]
	v_fmamk_f32 v45, v32, 0x3ed4b147, v45
	v_fmac_f32_e32 v69, 0x3f7d64f0, v37
	v_add_f32_e32 v14, v92, v50
	v_fmamk_f32 v50, v25, 0x3f575c64, v78
	v_add_f32_e32 v16, v16, v19
	v_add_f32_e32 v19, v77, v56
	v_fmamk_f32 v56, v32, 0xbf27a4f4, v79
	v_add_f32_e32 v44, v45, v44
	v_add_f32_e32 v50, v50, v59
	v_fmamk_f32 v45, v36, 0x3f575c64, v46
	v_fmac_f32_e32 v63, 0xbf4178ce, v37
	v_add_f32_e32 v37, v69, v54
	v_fmac_f32_e32 v72, 0xbf0a6770, v40
	v_add_f32_e32 v46, v56, v50
	v_fmamk_f32 v50, v36, 0x3ed4b147, v51
	v_add_f32_e32 v44, v45, v44
	v_fma_f32 v45, 0xbe11bafb, v25, -v71
	v_add_f32_e32 v18, v63, v18
	v_fmac_f32_e32 v64, 0x3e903f40, v40
	v_add_f32_e32 v46, v50, v46
	v_fma_f32 v50, 0x3f575c64, v32, -v74
	v_add_f32_e32 v45, v45, v53
	v_add_f32_e32 v37, v72, v37
	v_fmac_f32_e32 v17, 0xbe903f40, v41
	v_add_f32_e32 v18, v64, v18
	v_fmac_f32_e32 v66, 0x3f7d64f0, v41
	v_add_f32_e32 v40, v50, v45
	v_fma_f32 v45, 0xbf27a4f4, v25, -v65
	v_add_f32_e32 v37, v17, v37
	v_fma_f32 v41, 0xbf75a155, v32, -v57
	v_mul_f32_e32 v90, 0xbf27a4f4, v42
	v_add_f32_e32 v18, v66, v18
	v_add_f32_e32 v17, v45, v48
	v_fmac_f32_e32 v67, 0x3f0a6770, v43
	v_mul_f32_e32 v25, 0x3ed4b147, v25
	v_fmamk_f32 v91, v43, 0x3f4178ce, v90
	v_add_f32_e32 v16, v82, v16
	v_add_f32_e32 v41, v41, v17
	v_mul_f32_e32 v17, 0x3ed4b147, v29
	v_fmac_f32_e32 v75, 0x3f68dda4, v43
	v_mul_f32_e32 v32, 0xbe11bafb, v32
	v_mul_f32_e32 v33, 0xbe11bafb, v33
	v_add_f32_e32 v29, v67, v18
	v_add_f32_e32 v45, v24, v17
	v_sub_f32_e32 v18, v25, v22
	v_add_f32_e32 v5, v5, v68
	v_add_f32_e32 v4, v4, v70
	v_fmac_f32_e32 v90, 0xbf4178ce, v43
	v_fma_f32 v50, 0xbf75a155, v36, -v61
	v_fma_f32 v43, 0xbe11bafb, v36, -v58
	v_mul_f32_e32 v36, 0xbf27a4f4, v36
	v_mul_f32_e32 v38, 0xbf27a4f4, v38
	;; [unrolled: 1-line block ×3, first 2 shown]
	v_add_f32_e32 v17, v91, v16
	v_fmamk_f32 v16, v39, 0xbf27a4f4, v47
	v_fmamk_f32 v47, v39, 0xbe11bafb, v81
	v_add_f32_e32 v24, v75, v37
	v_fma_f32 v37, 0x3ed4b147, v39, -v76
	v_fma_f32 v25, 0x3f575c64, v39, -v73
	v_add_f32_e32 v39, v45, v52
	v_add_f32_e32 v28, v28, v33
	;; [unrolled: 1-line block ×3, first 2 shown]
	v_sub_f32_e32 v23, v32, v23
	v_add_f32_e32 v5, v7, v5
	v_add_f32_e32 v4, v6, v4
	v_mul_f32_e32 v42, 0xbf75a155, v42
	v_add_f32_e32 v28, v28, v39
	v_add_f32_e32 v31, v31, v38
	;; [unrolled: 1-line block ×3, first 2 shown]
	v_sub_f32_e32 v7, v36, v30
	v_add_f32_e32 v1, v1, v5
	v_add_f32_e32 v0, v0, v4
	;; [unrolled: 1-line block ×6, first 2 shown]
	v_sub_f32_e32 v6, v48, v34
	v_add_f32_e32 v3, v3, v1
	v_add_f32_e32 v2, v2, v0
	v_mov_b32_e32 v7, 3
	v_add_f32_e32 v22, v43, v41
	v_add_f32_e32 v40, v50, v40
	;; [unrolled: 1-line block ×7, first 2 shown]
	v_lshlrev_b32_sdwa v4, v7, v86 dst_sel:DWORD dst_unused:UNUSED_PAD src0_sel:DWORD src1_sel:WORD_0
	v_add_f32_e32 v15, v90, v89
	v_add_f32_e32 v28, v25, v22
	;; [unrolled: 1-line block ×6, first 2 shown]
	ds_write2_b64 v4, v[2:3], v[0:1] offset1:1
	ds_write2_b64 v4, v[28:29], v[14:15] offset0:2 offset1:3
	ds_write2_b64 v4, v[23:24], v[12:13] offset0:4 offset1:5
	;; [unrolled: 1-line block ×4, first 2 shown]
	ds_write_b64 v4, v[26:27] offset:80
.LBB0_7:
	s_or_b32 exec_lo, exec_lo, s4
	v_and_b32_e32 v0, 0xff, v84
	v_add_co_u32 v1, null, 0x268, v84
	v_mov_b32_e32 v2, 0xba2f
	v_add_nc_u16 v52, v84, 0x9a
	v_mul_lo_u16 v0, 0x75, v0
	v_mov_b32_e32 v23, 3
	s_load_dwordx4 s[4:7], s[0:1], 0x0
	v_mul_u32_u24_sdwa v4, v1, v2 dst_sel:DWORD dst_unused:UNUSED_PAD src0_sel:WORD_0 src1_sel:DWORD
	s_waitcnt lgkmcnt(0)
	v_lshrrev_b16 v0, 8, v0
	s_barrier
	buffer_gl0_inv
	v_lshrrev_b32_e32 v22, 19, v4
	v_lshlrev_b32_sdwa v85, v23, v84 dst_sel:DWORD dst_unused:UNUSED_PAD src0_sel:DWORD src1_sel:WORD_0
	v_sub_nc_u16 v3, v84, v0
	v_mov_b32_e32 v35, 22
	v_cmp_gt_u16_e64 s0, 0x42, v84
	v_mul_lo_u16 v4, v22, 11
	v_add_nc_u32_e32 v14, 0x1c00, v85
	v_lshrrev_b16 v3, 1, v3
	v_add_nc_u32_e32 v18, 0x800, v85
	v_add_nc_u32_e32 v36, 0xd00, v85
	v_sub_nc_u16 v24, v1, v4
	v_add_co_u32 v1, null, 0x1ce, v84
	v_and_b32_e32 v3, 0x7f, v3
	v_add_nc_u32_e32 v37, 0x1b00, v85
	v_lshlrev_b32_sdwa v5, v23, v24 dst_sel:DWORD dst_unused:UNUSED_PAD src0_sel:DWORD src1_sel:WORD_0
	v_mad_u16 v22, v22, 22, v24
                                        ; implicit-def: $vgpr46
                                        ; implicit-def: $vgpr50
	v_add_nc_u16 v0, v3, v0
	v_add_co_u32 v3, null, 0x134, v84
	global_load_dwordx2 v[61:62], v5, s[2:3]
	v_lshlrev_b32_sdwa v89, v23, v22 dst_sel:DWORD dst_unused:UNUSED_PAD src0_sel:DWORD src1_sel:WORD_0
	v_lshrrev_b16 v25, 3, v0
	v_mul_u32_u24_sdwa v0, v52, v2 dst_sel:DWORD dst_unused:UNUSED_PAD src0_sel:WORD_0 src1_sel:DWORD
	v_mul_u32_u24_sdwa v4, v3, v2 dst_sel:DWORD dst_unused:UNUSED_PAD src0_sel:WORD_0 src1_sel:DWORD
	;; [unrolled: 1-line block ×3, first 2 shown]
	v_mul_lo_u16 v6, v25, 11
	v_lshrrev_b32_e32 v28, 19, v0
	v_lshrrev_b32_e32 v29, 19, v4
	;; [unrolled: 1-line block ×3, first 2 shown]
	v_mul_u32_u24_sdwa v25, v25, v35 dst_sel:DWORD dst_unused:UNUSED_PAD src0_sel:WORD_0 src1_sel:DWORD
	v_sub_nc_u16 v4, v84, v6
	v_mul_lo_u16 v2, v28, 11
	v_and_b32_e32 v31, 0xff, v4
	v_sub_nc_u16 v32, v52, v2
	v_mul_lo_u16 v4, v30, 11
	v_lshlrev_b32_e32 v2, 3, v31
	v_mad_u16 v28, v28, 22, v32
	v_sub_nc_u16 v34, v1, v4
	v_lshlrev_b32_sdwa v1, v23, v32 dst_sel:DWORD dst_unused:UNUSED_PAD src0_sel:DWORD src1_sel:WORD_0
	v_add_lshl_u32 v93, v25, v31, 3
	global_load_dwordx2 v[67:68], v2, s[2:3]
	v_mul_lo_u16 v5, v29, 11
	v_lshlrev_b32_sdwa v2, v23, v34 dst_sel:DWORD dst_unused:UNUSED_PAD src0_sel:DWORD src1_sel:WORD_0
	v_lshlrev_b32_sdwa v92, v23, v28 dst_sel:DWORD dst_unused:UNUSED_PAD src0_sel:DWORD src1_sel:WORD_0
	v_mad_u16 v30, v30, 22, v34
	v_sub_nc_u16 v33, v3, v5
	v_lshlrev_b32_sdwa v90, v23, v30 dst_sel:DWORD dst_unused:UNUSED_PAD src0_sel:DWORD src1_sel:WORD_0
	v_lshlrev_b32_sdwa v3, v23, v33 dst_sel:DWORD dst_unused:UNUSED_PAD src0_sel:DWORD src1_sel:WORD_0
	v_mad_u16 v29, v29, 22, v33
	s_clause 0x2
	global_load_dwordx2 v[69:70], v1, s[2:3]
	global_load_dwordx2 v[65:66], v3, s[2:3]
	;; [unrolled: 1-line block ×3, first 2 shown]
	v_add_nc_u32_e32 v1, 0x2400, v85
	v_lshlrev_b32_sdwa v91, v23, v29 dst_sel:DWORD dst_unused:UNUSED_PAD src0_sel:DWORD src1_sel:WORD_0
	ds_read2_b64 v[2:5], v1 offset0:80 offset1:234
	v_add_nc_u32_e32 v1, 0x1200, v85
	ds_read2_b64 v[6:9], v1 offset0:40 offset1:194
	ds_read2_b64 v[10:13], v85 offset1:154
	ds_read2_b64 v[14:17], v14 offset0:28 offset1:182
	ds_read2_b64 v[18:21], v18 offset0:52 offset1:206
	s_waitcnt vmcnt(0) lgkmcnt(0)
	s_barrier
	buffer_gl0_inv
	v_mul_f32_e32 v24, v5, v62
	v_mul_f32_e32 v28, v4, v62
	v_fma_f32 v4, v4, v61, -v24
	v_fmac_f32_e32 v28, v5, v61
	v_sub_f32_e32 v24, v6, v4
	v_sub_f32_e32 v25, v7, v28
	v_fma_f32 v30, v6, 2.0, -v24
	v_mul_f32_e32 v4, v9, v68
	v_mul_f32_e32 v5, v8, v68
	v_fma_f32 v4, v8, v67, -v4
	v_fmac_f32_e32 v5, v9, v67
	v_mul_f32_e32 v6, v15, v70
	v_mul_f32_e32 v22, v14, v70
	v_mul_f32_e32 v23, v17, v66
	v_mul_f32_e32 v28, v16, v66
	v_mul_f32_e32 v29, v3, v64
	v_mul_f32_e32 v31, v2, v64
	v_fma_f32 v6, v14, v69, -v6
	v_fmac_f32_e32 v22, v15, v69
	v_fma_f32 v8, v16, v65, -v23
	v_fmac_f32_e32 v28, v17, v65
	;; [unrolled: 2-line block ×3, first 2 shown]
	v_sub_f32_e32 v2, v10, v4
	v_sub_f32_e32 v3, v11, v5
	v_sub_f32_e32 v4, v12, v6
	v_sub_f32_e32 v5, v13, v22
	v_sub_f32_e32 v8, v18, v8
	v_sub_f32_e32 v9, v19, v28
	v_sub_f32_e32 v28, v20, v14
	v_sub_f32_e32 v29, v21, v31
	v_fma_f32 v10, v10, 2.0, -v2
	v_fma_f32 v11, v11, 2.0, -v3
	;; [unrolled: 1-line block ×9, first 2 shown]
	ds_write2_b64 v93, v[10:11], v[2:3] offset1:11
	ds_write2_b64 v92, v[12:13], v[4:5] offset1:11
	ds_write2_b64 v91, v[14:15], v[8:9] offset1:11
	ds_write2_b64 v90, v[16:17], v[28:29] offset1:11
	ds_write2_b64 v89, v[30:31], v[24:25] offset1:11
	s_waitcnt lgkmcnt(0)
	s_barrier
	buffer_gl0_inv
	ds_read2_b64 v[32:35], v85 offset1:220
	ds_read2_b64 v[40:43], v36 offset0:24 offset1:244
	ds_read2_b64 v[36:39], v37 offset0:16 offset1:236
	ds_read_b64 v[48:49], v85 offset:10560
	s_and_saveexec_b32 s1, s0
	s_cbranch_execz .LBB0_9
; %bb.8:
	v_add_nc_u32_e32 v2, 0x400, v85
	v_add_nc_u32_e32 v3, 0x2000, v85
	ds_read2_b64 v[24:27], v1 offset0:18 offset1:238
	ds_read2_b64 v[28:31], v2 offset0:26 offset1:246
	;; [unrolled: 1-line block ×3, first 2 shown]
	ds_read_b64 v[50:51], v85 offset:11792
.LBB0_9:
	s_or_b32 exec_lo, exec_lo, s1
	v_lshrrev_b32_e32 v87, 20, v0
	v_lshrrev_b16 v1, 1, v84
	v_mov_b32_e32 v55, 0x9a
	v_mul_lo_u16 v0, v87, 22
	v_sub_nc_u16 v88, v52, v0
	v_and_b32_e32 v0, 0x7f, v1
	v_mul_lo_u16 v1, v88, 48
	v_mul_lo_u16 v0, 0xbb, v0
	v_and_b32_e32 v1, 0xffff, v1
	v_lshrrev_b16 v53, 11, v0
	v_add_co_u32 v8, s1, s2, v1
	v_mul_lo_u16 v4, v53, 22
	v_add_co_ci_u32_e64 v9, null, s3, 0, s1
	v_mul_u32_u24_sdwa v53, v53, v55 dst_sel:DWORD dst_unused:UNUSED_PAD src0_sel:WORD_0 src1_sel:DWORD
	v_sub_nc_u16 v10, v84, v4
	s_clause 0x1
	global_load_dwordx4 v[0:3], v[8:9], off offset:104
	global_load_dwordx4 v[4:7], v[8:9], off offset:120
	v_and_b32_e32 v54, 0xff, v10
	v_mad_u64_u32 v[10:11], null, v54, 48, s[2:3]
	v_add_lshl_u32 v94, v53, v54, 3
	s_clause 0x3
	global_load_dwordx4 v[20:23], v[10:11], off offset:88
	global_load_dwordx4 v[16:19], v[10:11], off offset:104
	;; [unrolled: 1-line block ×4, first 2 shown]
	s_waitcnt vmcnt(0) lgkmcnt(0)
	s_barrier
	buffer_gl0_inv
	v_mul_f32_e32 v53, v27, v1
	v_mul_f32_e32 v54, v26, v1
	;; [unrolled: 1-line block ×8, first 2 shown]
	v_fma_f32 v26, v26, v0, -v53
	v_fmac_f32_e32 v54, v27, v0
	v_fma_f32 v27, v44, v2, -v55
	v_fmac_f32_e32 v56, v45, v2
	;; [unrolled: 2-line block ×4, first 2 shown]
	v_add_f32_e32 v46, v26, v27
	v_add_f32_e32 v47, v54, v56
	v_sub_f32_e32 v26, v27, v26
	v_sub_f32_e32 v27, v56, v54
	v_mul_f32_e32 v50, v35, v21
	v_mul_f32_e32 v51, v34, v21
	;; [unrolled: 1-line block ×16, first 2 shown]
	v_fma_f32 v34, v34, v20, -v50
	v_fmac_f32_e32 v51, v35, v20
	v_fma_f32 v35, v40, v22, -v53
	v_fmac_f32_e32 v54, v41, v22
	;; [unrolled: 2-line block ×8, first 2 shown]
	v_add_f32_e32 v25, v34, v38
	v_add_f32_e32 v31, v51, v75
	v_sub_f32_e32 v34, v34, v38
	v_sub_f32_e32 v38, v51, v75
	v_add_f32_e32 v39, v35, v37
	v_add_f32_e32 v41, v54, v73
	v_sub_f32_e32 v35, v35, v37
	v_sub_f32_e32 v37, v54, v73
	;; [unrolled: 4-line block ×3, first 2 shown]
	v_add_f32_e32 v48, v30, v45
	v_add_f32_e32 v49, v77, v71
	;; [unrolled: 1-line block ×4, first 2 shown]
	v_sub_f32_e32 v30, v30, v45
	v_sub_f32_e32 v45, v77, v71
	;; [unrolled: 1-line block ×4, first 2 shown]
	v_add_f32_e32 v53, v39, v25
	v_add_f32_e32 v54, v41, v31
	v_sub_f32_e32 v55, v39, v25
	v_sub_f32_e32 v56, v41, v31
	;; [unrolled: 1-line block ×6, first 2 shown]
	v_add_f32_e32 v41, v36, v35
	v_add_f32_e32 v58, v40, v37
	v_sub_f32_e32 v59, v36, v35
	v_sub_f32_e32 v71, v40, v37
	;; [unrolled: 1-line block ×4, first 2 shown]
	v_add_f32_e32 v40, v50, v48
	v_add_f32_e32 v73, v51, v49
	v_sub_f32_e32 v36, v34, v36
	v_sub_f32_e32 v37, v37, v38
	;; [unrolled: 1-line block ×8, first 2 shown]
	v_add_f32_e32 v76, v26, v24
	v_add_f32_e32 v77, v27, v44
	v_sub_f32_e32 v78, v26, v24
	v_sub_f32_e32 v79, v27, v44
	;; [unrolled: 1-line block ×6, first 2 shown]
	v_add_f32_e32 v42, v42, v53
	v_add_f32_e32 v43, v43, v54
	v_mul_f32_e32 v24, 0x3f4a47b2, v25
	v_mul_f32_e32 v25, 0x3f4a47b2, v31
	;; [unrolled: 1-line block ×6, first 2 shown]
	v_add_f32_e32 v46, v46, v40
	v_add_f32_e32 v47, v47, v73
	;; [unrolled: 1-line block ×4, first 2 shown]
	v_mul_f32_e32 v53, 0xbf08b237, v71
	v_mul_f32_e32 v58, 0x3f5ff5aa, v37
	v_add_f32_e32 v30, v76, v30
	v_add_f32_e32 v45, v77, v45
	v_mul_f32_e32 v48, 0x3f4a47b2, v48
	v_mul_f32_e32 v49, 0x3f4a47b2, v49
	;; [unrolled: 1-line block ×8, first 2 shown]
	v_add_f32_e32 v40, v32, v42
	v_add_f32_e32 v41, v33, v43
	v_fmamk_f32 v32, v39, 0x3d64c772, v24
	v_fmamk_f32 v33, v57, 0x3d64c772, v25
	v_fma_f32 v39, 0x3f3bfb3b, v55, -v26
	v_fma_f32 v57, 0x3f3bfb3b, v56, -v27
	;; [unrolled: 1-line block ×4, first 2 shown]
	v_fmamk_f32 v79, v36, 0x3eae86e6, v31
	v_fma_f32 v35, 0x3f5ff5aa, v35, -v31
	v_fma_f32 v36, 0xbeae86e6, v36, -v54
	v_add_f32_e32 v24, v28, v46
	v_add_f32_e32 v25, v29, v47
	v_fmamk_f32 v95, v72, 0x3eae86e6, v53
	v_fma_f32 v37, 0x3f5ff5aa, v37, -v53
	v_fma_f32 v53, 0xbeae86e6, v72, -v58
	v_fmamk_f32 v31, v50, 0x3d64c772, v48
	v_fmamk_f32 v50, v51, 0x3d64c772, v49
	v_fma_f32 v51, 0x3f3bfb3b, v74, -v59
	v_fma_f32 v54, 0x3f3bfb3b, v75, -v71
	;; [unrolled: 1-line block ×4, first 2 shown]
	v_fmamk_f32 v26, v80, 0x3eae86e6, v73
	v_fmamk_f32 v27, v81, 0x3eae86e6, v76
	v_fma_f32 v58, 0x3f5ff5aa, v82, -v73
	v_fma_f32 v59, 0x3f5ff5aa, v44, -v76
	;; [unrolled: 1-line block ×4, first 2 shown]
	v_fmamk_f32 v42, v42, 0xbf955555, v40
	v_fmamk_f32 v43, v43, 0xbf955555, v41
	v_fmac_f32_e32 v79, 0x3ee1c552, v34
	v_fmac_f32_e32 v35, 0x3ee1c552, v34
	;; [unrolled: 1-line block ×3, first 2 shown]
	v_fmamk_f32 v34, v46, 0xbf955555, v24
	v_fmamk_f32 v44, v47, 0xbf955555, v25
	v_fmac_f32_e32 v95, 0x3ee1c552, v38
	v_fmac_f32_e32 v37, 0x3ee1c552, v38
	;; [unrolled: 1-line block ×9, first 2 shown]
	v_add_f32_e32 v32, v32, v42
	v_add_f32_e32 v33, v33, v43
	;; [unrolled: 1-line block ×13, first 2 shown]
	v_sub_f32_e32 v43, v33, v79
	v_add_f32_e32 v44, v53, v55
	v_sub_f32_e32 v45, v56, v36
	v_sub_f32_e32 v46, v71, v37
	v_add_f32_e32 v47, v35, v57
	v_add_f32_e32 v48, v37, v71
	v_sub_f32_e32 v49, v57, v35
	v_sub_f32_e32 v50, v55, v53
	v_add_f32_e32 v51, v36, v56
	v_sub_f32_e32 v53, v32, v95
	v_add_f32_e32 v54, v79, v33
	;; [unrolled: 2-line block ×3, first 2 shown]
	v_add_f32_e32 v32, v59, v72
	v_sub_f32_e32 v33, v73, v58
	v_sub_f32_e32 v34, v38, v28
	v_add_f32_e32 v35, v29, v39
	v_sub_f32_e32 v81, v30, v27
	v_add_f32_e32 v82, v26, v31
	ds_write2_b64 v94, v[40:41], v[42:43] offset1:22
	ds_write2_b64 v94, v[44:45], v[46:47] offset0:44 offset1:66
	ds_write2_b64 v94, v[48:49], v[50:51] offset0:88 offset1:110
	ds_write_b64 v94, v[53:54] offset:1056
	s_and_saveexec_b32 s1, s0
	s_cbranch_execz .LBB0_11
; %bb.10:
	v_mov_b32_e32 v40, 0xba2f
	v_mov_b32_e32 v41, 3
	v_sub_f32_e32 v31, v31, v26
	v_add_f32_e32 v30, v27, v30
	v_sub_f32_e32 v29, v39, v29
	v_mul_u32_u24_sdwa v40, v52, v40 dst_sel:DWORD dst_unused:UNUSED_PAD src0_sel:WORD_0 src1_sel:DWORD
	v_add_f32_e32 v28, v28, v38
	v_lshrrev_b32_e32 v40, 20, v40
	v_mad_u16 v40, 0x9a, v40, v88
	v_lshlrev_b32_sdwa v26, v41, v40 dst_sel:DWORD dst_unused:UNUSED_PAD src0_sel:DWORD src1_sel:WORD_0
	ds_write2_b64 v26, v[24:25], v[30:31] offset1:22
	ds_write2_b64 v26, v[28:29], v[36:37] offset0:44 offset1:66
	ds_write2_b64 v26, v[32:33], v[34:35] offset0:88 offset1:110
	ds_write_b64 v26, v[81:82] offset:1056
.LBB0_11:
	s_or_b32 exec_lo, exec_lo, s1
	v_lshlrev_b32_e32 v71, 5, v84
	s_waitcnt lgkmcnt(0)
	s_barrier
	buffer_gl0_inv
	v_add_nc_u32_e32 v38, 0x800, v85
	s_clause 0x1
	global_load_dwordx4 v[28:31], v71, s[2:3] offset:1144
	global_load_dwordx4 v[24:27], v71, s[2:3] offset:1160
	v_add_nc_u32_e32 v39, 0x1200, v85
	v_add_nc_u32_e32 v96, 0x1c00, v85
	;; [unrolled: 1-line block ×3, first 2 shown]
	ds_read2_b64 v[40:43], v85 offset1:154
	ds_read2_b64 v[44:47], v38 offset0:52 offset1:206
	ds_read2_b64 v[48:51], v39 offset0:40 offset1:194
	;; [unrolled: 1-line block ×4, first 2 shown]
	v_mul_i32_i24_e32 v73, 0xffffffe8, v84
	v_add_co_u32 v71, s1, s2, v71
	v_mul_hi_i32_i24_e32 v72, 0xffffffe8, v84
	v_add_co_ci_u32_e64 v74, null, s3, 0, s1
	v_add_co_u32 v79, s1, v71, v73
	s_waitcnt vmcnt(0) lgkmcnt(0)
	v_add_co_ci_u32_e64 v80, s1, v74, v72, s1
	v_add_co_u32 v71, s1, 0x1000, v79
	s_barrier
	v_add_co_ci_u32_e64 v72, s1, 0, v80, s1
	v_add_co_u32 v73, s1, 0x1800, v79
	v_add_co_ci_u32_e64 v74, s1, 0, v80, s1
	v_add_co_u32 v77, s1, 0x2000, v79
	v_add_co_ci_u32_e64 v78, s1, 0, v80, s1
	buffer_gl0_inv
	v_mul_f32_e32 v75, v45, v29
	v_mul_f32_e32 v76, v44, v29
	;; [unrolled: 1-line block ×16, first 2 shown]
	v_fma_f32 v44, v44, v28, -v75
	v_fmac_f32_e32 v76, v45, v28
	v_fma_f32 v45, v48, v30, -v97
	v_fmac_f32_e32 v98, v49, v30
	;; [unrolled: 2-line block ×8, first 2 shown]
	v_add_f32_e32 v49, v40, v44
	v_add_f32_e32 v50, v45, v48
	;; [unrolled: 1-line block ×3, first 2 shown]
	v_sub_f32_e32 v51, v44, v45
	v_sub_f32_e32 v53, v56, v48
	v_add_f32_e32 v54, v44, v56
	v_add_f32_e32 v97, v41, v76
	;; [unrolled: 1-line block ×3, first 2 shown]
	v_sub_f32_e32 v55, v45, v44
	v_sub_f32_e32 v75, v48, v56
	v_add_f32_e32 v112, v42, v46
	v_add_f32_e32 v113, v47, v52
	;; [unrolled: 1-line block ×6, first 2 shown]
	v_sub_f32_e32 v57, v76, v102
	v_sub_f32_e32 v101, v44, v56
	;; [unrolled: 1-line block ×3, first 2 shown]
	v_add_f32_e32 v49, v49, v45
	v_fma_f32 v44, -0.5, v50, v40
	v_fma_f32 v45, -0.5, v99, v41
	v_sub_f32_e32 v59, v98, v100
	v_add_f32_e32 v129, v51, v53
	v_fma_f32 v40, -0.5, v54, v40
	v_add_f32_e32 v51, v97, v98
	v_fma_f32 v41, -0.5, v109, v41
	v_sub_f32_e32 v105, v76, v98
	v_sub_f32_e32 v107, v102, v100
	;; [unrolled: 1-line block ×8, first 2 shown]
	v_add_f32_e32 v75, v55, v75
	v_add_f32_e32 v53, v112, v47
	v_fma_f32 v46, -0.5, v113, v42
	v_fma_f32 v42, -0.5, v118, v42
	v_add_f32_e32 v55, v121, v106
	v_fma_f32 v47, -0.5, v122, v43
	v_fmac_f32_e32 v43, -0.5, v127
	v_sub_f32_e32 v125, v104, v106
	v_sub_f32_e32 v104, v106, v104
	v_add_f32_e32 v106, v49, v48
	v_fmamk_f32 v48, v57, 0x3f737871, v44
	v_fmamk_f32 v49, v101, 0xbf737871, v45
	v_sub_f32_e32 v76, v98, v76
	v_sub_f32_e32 v111, v100, v102
	v_fmamk_f32 v50, v59, 0xbf737871, v40
	v_fmac_f32_e32 v40, 0x3f737871, v59
	v_add_f32_e32 v100, v51, v100
	v_fmamk_f32 v51, v103, 0x3f737871, v41
	v_fmac_f32_e32 v41, 0xbf737871, v103
	v_fmac_f32_e32 v44, 0xbf737871, v57
	;; [unrolled: 1-line block ×3, first 2 shown]
	v_sub_f32_e32 v117, v58, v52
	v_sub_f32_e32 v120, v52, v58
	;; [unrolled: 1-line block ×4, first 2 shown]
	v_add_f32_e32 v97, v105, v107
	v_add_f32_e32 v107, v53, v52
	v_fmamk_f32 v52, v114, 0x3f737871, v46
	v_fmamk_f32 v54, v115, 0xbf737871, v42
	v_add_f32_e32 v108, v55, v108
	v_fmamk_f32 v53, v123, 0xbf737871, v47
	v_fmamk_f32 v55, v124, 0x3f737871, v43
	v_fmac_f32_e32 v46, 0xbf737871, v114
	v_fmac_f32_e32 v42, 0x3f737871, v115
	;; [unrolled: 1-line block ×6, first 2 shown]
	v_add_f32_e32 v76, v76, v111
	v_fmac_f32_e32 v50, 0x3f167918, v57
	v_fmac_f32_e32 v40, 0xbf167918, v57
	;; [unrolled: 1-line block ×6, first 2 shown]
	v_add_f32_e32 v98, v116, v117
	v_add_f32_e32 v99, v119, v120
	;; [unrolled: 1-line block ×4, first 2 shown]
	v_fmac_f32_e32 v52, 0x3f167918, v115
	v_fmac_f32_e32 v54, 0x3f167918, v114
	;; [unrolled: 1-line block ×8, first 2 shown]
	v_add_f32_e32 v56, v106, v56
	v_add_f32_e32 v57, v100, v102
	v_fmac_f32_e32 v48, 0x3e9e377a, v129
	v_fmac_f32_e32 v49, 0x3e9e377a, v97
	;; [unrolled: 1-line block ×6, first 2 shown]
	v_add_f32_e32 v58, v107, v58
	v_add_f32_e32 v59, v108, v110
	v_fmac_f32_e32 v44, 0x3e9e377a, v129
	v_fmac_f32_e32 v45, 0x3e9e377a, v97
	v_fmac_f32_e32 v52, 0x3e9e377a, v98
	v_fmac_f32_e32 v54, 0x3e9e377a, v99
	v_fmac_f32_e32 v53, 0x3e9e377a, v105
	v_fmac_f32_e32 v55, 0x3e9e377a, v104
	v_fmac_f32_e32 v46, 0x3e9e377a, v98
	v_fmac_f32_e32 v42, 0x3e9e377a, v99
	v_fmac_f32_e32 v47, 0x3e9e377a, v105
	v_fmac_f32_e32 v43, 0x3e9e377a, v104
	ds_write2_b64 v85, v[56:57], v[48:49] offset1:154
	ds_write2_b64 v38, v[50:51], v[40:41] offset0:52 offset1:206
	ds_write2_b64 v39, v[44:45], v[58:59] offset0:40 offset1:194
	;; [unrolled: 1-line block ×4, first 2 shown]
	v_add_co_u32 v40, s1, 0x2800, v79
	v_add_co_ci_u32_e64 v41, s1, 0, v80, s1
	s_waitcnt lgkmcnt(0)
	s_barrier
	buffer_gl0_inv
	s_clause 0x4
	global_load_dwordx2 v[75:76], v[71:72], off offset:1976
	global_load_dwordx2 v[71:72], v[73:74], off offset:1160
	;; [unrolled: 1-line block ×5, first 2 shown]
	ds_read2_b64 v[40:43], v39 offset0:40 offset1:194
	ds_read2_b64 v[44:47], v96 offset0:28 offset1:182
	;; [unrolled: 1-line block ×3, first 2 shown]
	ds_read2_b64 v[97:100], v85 offset1:154
	ds_read2_b64 v[101:104], v38 offset0:52 offset1:206
	s_waitcnt vmcnt(4) lgkmcnt(4)
	v_mul_f32_e32 v52, v43, v76
	v_mul_f32_e32 v53, v42, v76
	s_waitcnt vmcnt(3) lgkmcnt(3)
	v_mul_f32_e32 v54, v45, v72
	v_mul_f32_e32 v55, v44, v72
	s_waitcnt vmcnt(2)
	v_mul_f32_e32 v56, v47, v80
	v_mul_f32_e32 v57, v46, v80
	s_waitcnt vmcnt(1) lgkmcnt(2)
	v_mul_f32_e32 v58, v49, v78
	v_mul_f32_e32 v105, v48, v78
	s_waitcnt vmcnt(0)
	v_mul_f32_e32 v59, v51, v74
	v_mul_f32_e32 v106, v50, v74
	v_fma_f32 v42, v42, v75, -v52
	v_fmac_f32_e32 v53, v43, v75
	v_fma_f32 v43, v44, v71, -v54
	v_fmac_f32_e32 v55, v45, v71
	;; [unrolled: 2-line block ×5, first 2 shown]
	s_waitcnt lgkmcnt(1)
	v_sub_f32_e32 v46, v97, v42
	v_sub_f32_e32 v47, v98, v53
	;; [unrolled: 1-line block ×4, first 2 shown]
	s_waitcnt lgkmcnt(0)
	v_sub_f32_e32 v54, v101, v44
	v_sub_f32_e32 v55, v102, v57
	;; [unrolled: 1-line block ×6, first 2 shown]
	v_fma_f32 v44, v97, 2.0, -v46
	v_fma_f32 v45, v98, 2.0, -v47
	v_fma_f32 v56, v99, 2.0, -v58
	v_fma_f32 v57, v100, 2.0, -v59
	v_fma_f32 v52, v101, 2.0, -v54
	v_fma_f32 v53, v102, 2.0, -v55
	v_fma_f32 v48, v103, 2.0, -v50
	v_fma_f32 v49, v104, 2.0, -v51
	v_fma_f32 v40, v40, 2.0, -v42
	v_fma_f32 v41, v41, 2.0, -v43
	ds_write2_b64 v96, v[58:59], v[54:55] offset0:28 offset1:182
	ds_write2_b64 v95, v[50:51], v[42:43] offset0:80 offset1:234
	ds_write2_b64 v85, v[44:45], v[56:57] offset1:154
	ds_write2_b64 v38, v[52:53], v[48:49] offset0:52 offset1:206
	ds_write2_b64 v39, v[40:41], v[46:47] offset0:40 offset1:194
	s_waitcnt lgkmcnt(0)
	s_barrier
	buffer_gl0_inv
	s_and_saveexec_b32 s2, vcc_lo
	s_cbranch_execz .LBB0_13
; %bb.12:
	v_add_co_u32 v101, s1, s14, v83
	v_add_co_ci_u32_e64 v102, null, s15, 0, s1
	v_add_nc_u32_e32 v135, 0x400, v83
	v_add_co_u32 v38, s1, 0x3000, v101
	v_add_co_ci_u32_e64 v39, s1, 0, v102, s1
	v_add_co_u32 v95, s1, 0x3020, v101
	v_add_co_ci_u32_e64 v96, s1, 0, v102, s1
	global_load_dwordx2 v[38:39], v[38:39], off offset:32
	v_add_co_u32 v97, s1, 0x3800, v101
	v_add_co_ci_u32_e64 v98, s1, 0, v102, s1
	v_add_co_u32 v99, s1, 0x4000, v101
	v_add_co_ci_u32_e64 v100, s1, 0, v102, s1
	s_clause 0x2
	global_load_dwordx2 v[115:116], v[97:98], off offset:224
	global_load_dwordx2 v[117:118], v[97:98], off offset:1344
	;; [unrolled: 1-line block ×3, first 2 shown]
	v_add_co_u32 v95, s1, 0x4800, v101
	v_add_co_ci_u32_e64 v96, s1, 0, v102, s1
	v_add_co_u32 v97, s1, 0x5000, v101
	v_add_co_ci_u32_e64 v98, s1, 0, v102, s1
	s_clause 0x3
	global_load_dwordx2 v[121:122], v[99:100], off offset:416
	global_load_dwordx2 v[123:124], v[99:100], off offset:1536
	;; [unrolled: 1-line block ×4, first 2 shown]
	v_add_co_u32 v95, s1, 0x5800, v101
	v_add_co_ci_u32_e64 v96, s1, 0, v102, s1
	s_clause 0x2
	global_load_dwordx2 v[129:130], v[97:98], off offset:800
	global_load_dwordx2 v[131:132], v[97:98], off offset:1920
	;; [unrolled: 1-line block ×3, first 2 shown]
	ds_read_b64 v[95:96], v85
	v_add_nc_u32_e32 v136, 0xc00, v83
	v_add_nc_u32_e32 v137, 0x1400, v83
	;; [unrolled: 1-line block ×4, first 2 shown]
	s_waitcnt vmcnt(10) lgkmcnt(0)
	v_mul_f32_e32 v97, v96, v39
	v_mul_f32_e32 v98, v95, v39
	v_fma_f32 v97, v95, v38, -v97
	v_fmac_f32_e32 v98, v96, v38
	ds_write_b64 v85, v[97:98]
	ds_read2_b64 v[95:98], v135 offset0:12 offset1:152
	ds_read2_b64 v[99:102], v136 offset0:36 offset1:176
	;; [unrolled: 1-line block ×5, first 2 shown]
	s_waitcnt vmcnt(7) lgkmcnt(4)
	v_mul_f32_e32 v38, v96, v120
	v_mul_f32_e32 v39, v95, v120
	;; [unrolled: 1-line block ×4, first 2 shown]
	s_waitcnt lgkmcnt(3)
	v_mul_f32_e32 v141, v100, v118
	v_mul_f32_e32 v116, v99, v118
	s_waitcnt vmcnt(6)
	v_mul_f32_e32 v142, v102, v122
	v_mul_f32_e32 v118, v101, v122
	s_waitcnt vmcnt(5) lgkmcnt(2)
	v_mul_f32_e32 v143, v104, v124
	v_mul_f32_e32 v122, v103, v124
	s_waitcnt vmcnt(4)
	v_mul_f32_e32 v144, v106, v126
	v_mul_f32_e32 v124, v105, v126
	s_waitcnt vmcnt(3) lgkmcnt(1)
	;; [unrolled: 6-line block ×3, first 2 shown]
	v_mul_f32_e32 v147, v112, v132
	v_mul_f32_e32 v130, v111, v132
	s_waitcnt vmcnt(0)
	v_mul_f32_e32 v148, v114, v134
	v_mul_f32_e32 v132, v113, v134
	v_fma_f32 v38, v95, v119, -v38
	v_fmac_f32_e32 v39, v96, v119
	v_fma_f32 v119, v97, v115, -v140
	v_fmac_f32_e32 v120, v98, v115
	;; [unrolled: 2-line block ×10, first 2 shown]
	ds_write2_b64 v135, v[38:39], v[119:120] offset0:12 offset1:152
	ds_write2_b64 v136, v[115:116], v[117:118] offset0:36 offset1:176
	ds_write2_b64 v137, v[121:122], v[123:124] offset0:60 offset1:200
	ds_write2_b64 v138, v[125:126], v[127:128] offset0:84 offset1:224
	ds_write2_b64 v139, v[129:130], v[131:132] offset0:108 offset1:248
.LBB0_13:
	s_or_b32 exec_lo, exec_lo, s2
	s_waitcnt lgkmcnt(0)
	s_barrier
	buffer_gl0_inv
	s_and_saveexec_b32 s1, vcc_lo
	s_cbranch_execz .LBB0_15
; %bb.14:
	v_add_nc_u32_e32 v36, 0x800, v85
	v_add_nc_u32_e32 v37, 0x1000, v85
	;; [unrolled: 1-line block ×4, first 2 shown]
	ds_read2_b64 v[44:47], v85 offset1:140
	ds_read2_b64 v[56:59], v36 offset0:24 offset1:164
	ds_read2_b64 v[52:55], v37 offset0:48 offset1:188
	;; [unrolled: 1-line block ×4, first 2 shown]
	ds_read_b64 v[36:37], v85 offset:11200
.LBB0_15:
	s_or_b32 exec_lo, exec_lo, s1
	s_waitcnt lgkmcnt(0)
	v_sub_f32_e32 v115, v47, v37
	v_add_f32_e32 v109, v37, v47
	v_add_f32_e32 v107, v36, v46
	v_sub_f32_e32 v120, v46, v36
	v_sub_f32_e32 v116, v57, v43
	v_mul_f32_e32 v95, 0xbf0a6770, v115
	v_mul_f32_e32 v96, 0x3f575c64, v109
	v_add_f32_e32 v111, v43, v57
	v_add_f32_e32 v108, v42, v56
	v_mul_f32_e32 v97, 0xbf68dda4, v116
	v_fma_f32 v38, 0x3f575c64, v107, -v95
	v_fmamk_f32 v39, v120, 0xbf0a6770, v96
	v_sub_f32_e32 v121, v56, v42
	v_mul_f32_e32 v98, 0x3ed4b147, v111
	v_sub_f32_e32 v118, v59, v41
	v_add_f32_e32 v38, v44, v38
	v_add_f32_e32 v39, v45, v39
	v_fma_f32 v101, 0x3ed4b147, v108, -v97
	v_add_f32_e32 v112, v41, v59
	v_fmamk_f32 v102, v121, 0xbf68dda4, v98
	v_add_f32_e32 v110, v40, v58
	v_mul_f32_e32 v99, 0xbf7d64f0, v118
	v_sub_f32_e32 v123, v58, v40
	v_mul_f32_e32 v100, 0xbe11bafb, v112
	v_add_f32_e32 v38, v101, v38
	v_add_f32_e32 v39, v102, v39
	v_sub_f32_e32 v119, v53, v51
	v_fma_f32 v102, 0xbe11bafb, v110, -v99
	v_add_f32_e32 v113, v51, v53
	v_fmamk_f32 v103, v123, 0xbf7d64f0, v100
	v_add_f32_e32 v105, v50, v52
	v_mul_f32_e32 v101, 0xbf4178ce, v119
	v_add_f32_e32 v38, v102, v38
	v_sub_f32_e32 v124, v52, v50
	v_mul_f32_e32 v102, 0xbf27a4f4, v113
	v_sub_f32_e32 v117, v55, v49
	v_add_f32_e32 v114, v49, v55
	v_add_f32_e32 v39, v103, v39
	v_fma_f32 v125, 0xbf27a4f4, v105, -v101
	v_fmamk_f32 v126, v124, 0xbf4178ce, v102
	v_add_f32_e32 v106, v48, v54
	v_sub_f32_e32 v122, v54, v48
	v_mul_f32_e32 v103, 0xbe903f40, v117
	v_mul_f32_e32 v104, 0xbf75a155, v114
	v_add_f32_e32 v38, v125, v38
	v_add_f32_e32 v39, v126, v39
	v_fma_f32 v125, 0xbf75a155, v106, -v103
	v_fmamk_f32 v126, v122, 0xbe903f40, v104
	s_barrier
	buffer_gl0_inv
	v_add_f32_e32 v38, v125, v38
	v_add_f32_e32 v39, v126, v39
	s_and_saveexec_b32 s1, vcc_lo
	s_cbranch_execz .LBB0_17
; %bb.16:
	v_mul_f32_e32 v127, 0xbf68dda4, v120
	v_mul_f32_e32 v132, 0xbf4178ce, v121
	;; [unrolled: 1-line block ×5, first 2 shown]
	v_fmamk_f32 v125, v109, 0x3ed4b147, v127
	v_fmamk_f32 v126, v111, 0xbf27a4f4, v132
	v_mul_f32_e32 v142, 0xbf4178ce, v116
	v_fma_f32 v128, 0x3ed4b147, v107, -v139
	v_mul_f32_e32 v145, 0x3e903f40, v118
	v_add_f32_e32 v125, v45, v125
	v_mul_f32_e32 v146, 0x3f0a6770, v122
	v_fma_f32 v144, 0xbf27a4f4, v108, -v142
	v_add_f32_e32 v128, v44, v128
	v_mul_f32_e32 v147, 0xbf7d64f0, v120
	v_add_f32_e32 v125, v126, v125
	v_fmamk_f32 v126, v112, 0xbf75a155, v136
	v_fmamk_f32 v148, v114, 0x3f575c64, v146
	v_mul_f32_e32 v150, 0x3e903f40, v121
	v_fmamk_f32 v149, v109, 0xbe11bafb, v147
	v_mul_f32_e32 v152, 0xbf7d64f0, v115
	v_add_f32_e32 v125, v126, v125
	v_fmamk_f32 v126, v113, 0xbe11bafb, v140
	v_mul_f32_e32 v153, 0xbf0a6770, v124
	v_mul_f32_e32 v156, 0x3e903f40, v116
	v_fma_f32 v155, 0xbe11bafb, v107, -v152
	v_mul_f32_e32 v158, 0xbf4178ce, v122
	v_add_f32_e32 v125, v126, v125
	v_add_f32_e32 v126, v144, v128
	v_fma_f32 v128, 0xbf75a155, v110, -v145
	v_mul_f32_e32 v144, 0x3f7d64f0, v119
	v_fmamk_f32 v157, v113, 0x3f575c64, v153
	v_mul_f32_e32 v159, 0xbf0a6770, v119
	v_mul_f32_e32 v161, 0x3f7d64f0, v121
	v_add_f32_e32 v128, v128, v126
	v_fma_f32 v151, 0xbe11bafb, v105, -v144
	v_add_f32_e32 v126, v148, v125
	v_add_f32_e32 v125, v45, v149
	v_fmamk_f32 v148, v111, 0xbf75a155, v150
	v_mul_f32_e32 v149, 0x3f68dda4, v123
	v_add_f32_e32 v128, v151, v128
	v_mul_f32_e32 v151, 0x3f0a6770, v117
	v_fmamk_f32 v162, v114, 0xbf27a4f4, v158
	v_add_f32_e32 v125, v148, v125
	v_fmamk_f32 v148, v112, 0x3ed4b147, v149
	v_fma_f32 v163, 0x3f575c64, v105, -v159
	v_fma_f32 v154, 0x3f575c64, v106, -v151
	v_fmamk_f32 v164, v111, 0xbe11bafb, v161
	v_mul_f32_e32 v165, 0xbf0a6770, v123
	v_add_f32_e32 v148, v148, v125
	v_mul_f32_e32 v167, 0x3f7d64f0, v116
	v_add_f32_e32 v125, v154, v128
	v_add_f32_e32 v128, v44, v155
	v_fma_f32 v154, 0xbf75a155, v108, -v156
	v_mul_f32_e32 v155, 0x3f68dda4, v118
	v_add_f32_e32 v148, v157, v148
	v_mul_f32_e32 v157, 0xbf4178ce, v120
	v_fma_f32 v169, 0xbe11bafb, v108, -v167
	v_add_f32_e32 v128, v154, v128
	v_fma_f32 v154, 0x3ed4b147, v110, -v155
	v_mul_f32_e32 v170, 0xbf0a6770, v118
	v_fmamk_f32 v160, v109, 0xbf27a4f4, v157
	v_mul_f32_e32 v130, 0xbf0a6770, v120
	v_mul_f32_e32 v171, 0xbe903f40, v120
	v_add_f32_e32 v154, v154, v128
	v_add_f32_e32 v128, v162, v148
	;; [unrolled: 1-line block ×3, first 2 shown]
	v_fmamk_f32 v162, v112, 0x3f575c64, v165
	v_fmamk_f32 v173, v109, 0xbf75a155, v171
	v_add_f32_e32 v148, v163, v154
	v_mul_f32_e32 v154, 0xbf4178ce, v115
	v_add_f32_e32 v160, v164, v160
	v_mul_f32_e32 v163, 0xbe903f40, v124
	v_mul_f32_e32 v174, 0x3f0a6770, v121
	v_mul_f32_e32 v133, 0xbf68dda4, v121
	v_fma_f32 v166, 0xbf27a4f4, v107, -v154
	v_add_f32_e32 v160, v162, v160
	v_fmamk_f32 v162, v113, 0xbf75a155, v163
	v_mul_f32_e32 v135, 0xbf7d64f0, v123
	v_mul_f32_e32 v123, 0xbf4178ce, v123
	v_add_f32_e32 v166, v44, v166
	v_mul_f32_e32 v115, 0xbe903f40, v115
	v_add_f32_e32 v160, v162, v160
	v_mul_f32_e32 v162, 0x3f68dda4, v122
	v_fma_f32 v171, 0xbf75a155, v109, -v171
	v_add_f32_e32 v120, v169, v166
	v_fma_f32 v166, 0x3f575c64, v110, -v170
	v_mul_f32_e32 v169, 0xbe903f40, v119
	v_fmamk_f32 v172, v114, 0x3ed4b147, v162
	v_mul_f32_e32 v138, 0xbf4178ce, v124
	v_mul_f32_e32 v124, 0x3f68dda4, v124
	v_add_f32_e32 v120, v166, v120
	v_fma_f32 v166, 0xbf75a155, v105, -v169
	v_add_f32_e32 v121, v172, v160
	v_add_f32_e32 v160, v45, v173
	v_fmamk_f32 v172, v111, 0x3f575c64, v174
	v_fma_f32 v175, 0xbf75a155, v107, -v115
	v_add_f32_e32 v120, v166, v120
	v_mul_f32_e32 v166, 0x3f68dda4, v117
	v_mul_f32_e32 v116, 0x3f0a6770, v116
	v_add_f32_e32 v160, v172, v160
	v_fmamk_f32 v172, v112, 0xbf27a4f4, v123
	v_add_f32_e32 v171, v45, v171
	v_fma_f32 v173, 0x3ed4b147, v106, -v166
	v_fma_f32 v174, 0x3f575c64, v111, -v174
	v_fmac_f32_e32 v115, 0xbf75a155, v107
	v_add_f32_e32 v160, v172, v160
	v_fmamk_f32 v172, v113, 0x3ed4b147, v124
	v_add_f32_e32 v120, v173, v120
	v_add_f32_e32 v173, v44, v175
	v_fma_f32 v175, 0x3f575c64, v108, -v116
	v_mul_f32_e32 v118, 0xbf4178ce, v118
	v_add_f32_e32 v171, v174, v171
	v_fma_f32 v123, 0xbf27a4f4, v112, -v123
	v_add_f32_e32 v174, v44, v115
	v_fmac_f32_e32 v116, 0x3f575c64, v108
	v_mul_f32_e32 v143, 0xbe903f40, v122
	v_mul_f32_e32 v164, 0xbf4178ce, v117
	v_add_f32_e32 v160, v172, v160
	v_mul_f32_e32 v122, 0xbf7d64f0, v122
	v_add_f32_e32 v172, v175, v173
	v_fma_f32 v173, 0xbf27a4f4, v110, -v118
	v_mul_f32_e32 v119, 0x3f68dda4, v119
	v_add_f32_e32 v123, v123, v171
	v_fma_f32 v124, 0x3ed4b147, v113, -v124
	v_add_f32_e32 v116, v116, v174
	v_fmac_f32_e32 v118, 0xbf27a4f4, v110
	v_mul_f32_e32 v171, 0xbf7d64f0, v117
	v_fma_f32 v117, 0xbf27a4f4, v109, -v157
	v_fmamk_f32 v175, v114, 0xbe11bafb, v122
	v_add_f32_e32 v172, v173, v172
	v_fma_f32 v173, 0x3ed4b147, v105, -v119
	v_add_f32_e32 v123, v124, v123
	v_fma_f32 v122, 0xbe11bafb, v114, -v122
	v_add_f32_e32 v116, v118, v116
	v_fmac_f32_e32 v119, 0x3ed4b147, v105
	v_add_f32_e32 v118, v45, v117
	v_fma_f32 v124, 0xbe11bafb, v111, -v161
	v_fmac_f32_e32 v154, 0xbf27a4f4, v107
	v_add_f32_e32 v117, v122, v123
	v_add_f32_e32 v116, v119, v116
	v_fma_f32 v119, 0x3f575c64, v112, -v165
	v_add_f32_e32 v118, v124, v118
	v_add_f32_e32 v122, v44, v154
	v_fmac_f32_e32 v167, 0xbe11bafb, v108
	v_fma_f32 v123, 0xbe11bafb, v109, -v147
	v_add_f32_e32 v47, v47, v45
	v_add_f32_e32 v46, v46, v44
	;; [unrolled: 1-line block ×3, first 2 shown]
	v_fma_f32 v119, 0xbf75a155, v113, -v163
	v_add_f32_e32 v122, v167, v122
	v_fmac_f32_e32 v170, 0x3f575c64, v110
	v_add_f32_e32 v123, v45, v123
	v_fma_f32 v124, 0xbf75a155, v111, -v150
	v_add_f32_e32 v47, v57, v47
	v_add_f32_e32 v56, v56, v46
	;; [unrolled: 1-line block ×3, first 2 shown]
	v_fma_f32 v119, 0x3ed4b147, v114, -v162
	v_add_f32_e32 v122, v170, v122
	v_fmac_f32_e32 v169, 0xbf75a155, v105
	v_add_f32_e32 v123, v124, v123
	v_fma_f32 v124, 0x3ed4b147, v112, -v149
	v_add_f32_e32 v47, v59, v47
	v_add_f32_e32 v56, v58, v56
	v_fmac_f32_e32 v152, 0xbe11bafb, v107
	v_mul_f32_e32 v129, 0x3f575c64, v107
	v_add_f32_e32 v119, v119, v118
	v_add_f32_e32 v118, v169, v122
	;; [unrolled: 1-line block ×3, first 2 shown]
	v_fma_f32 v123, 0x3f575c64, v113, -v153
	v_add_f32_e32 v47, v53, v47
	v_add_f32_e32 v52, v52, v56
	v_fma_f32 v109, 0x3ed4b147, v109, -v127
	v_add_f32_e32 v124, v44, v152
	v_fmac_f32_e32 v156, 0xbf75a155, v108
	v_mul_f32_e32 v131, 0x3ed4b147, v108
	v_add_f32_e32 v122, v123, v122
	v_fma_f32 v123, 0xbf27a4f4, v114, -v158
	v_fmac_f32_e32 v139, 0x3ed4b147, v107
	v_sub_f32_e32 v96, v96, v130
	v_add_f32_e32 v58, v129, v95
	v_add_f32_e32 v47, v55, v47
	v_add_f32_e32 v52, v54, v52
	v_add_f32_e32 v127, v45, v109
	v_fma_f32 v111, 0xbf27a4f4, v111, -v132
	v_add_f32_e32 v124, v156, v124
	v_fmac_f32_e32 v155, 0x3ed4b147, v110
	v_mul_f32_e32 v134, 0xbe11bafb, v110
	v_add_f32_e32 v109, v123, v122
	v_add_f32_e32 v122, v44, v139
	;; [unrolled: 1-line block ×3, first 2 shown]
	v_sub_f32_e32 v53, v98, v133
	v_add_f32_e32 v44, v44, v58
	v_add_f32_e32 v56, v131, v97
	;; [unrolled: 1-line block ×5, first 2 shown]
	v_fma_f32 v111, 0xbf75a155, v112, -v136
	v_add_f32_e32 v112, v155, v124
	v_fmac_f32_e32 v159, 0x3f575c64, v105
	v_fmac_f32_e32 v142, 0xbf27a4f4, v108
	v_mul_f32_e32 v137, 0xbf27a4f4, v105
	v_add_f32_e32 v45, v53, v45
	v_sub_f32_e32 v53, v100, v135
	v_add_f32_e32 v44, v56, v44
	v_add_f32_e32 v49, v134, v99
	;; [unrolled: 1-line block ×7, first 2 shown]
	v_fmac_f32_e32 v145, 0xbf75a155, v110
	v_mul_f32_e32 v141, 0xbf75a155, v106
	v_add_f32_e32 v45, v53, v45
	v_sub_f32_e32 v52, v102, v138
	v_add_f32_e32 v44, v49, v44
	v_add_f32_e32 v49, v137, v101
	;; [unrolled: 1-line block ×4, first 2 shown]
	v_fma_f32 v108, 0xbe11bafb, v113, -v140
	v_add_f32_e32 v112, v145, v112
	v_fmac_f32_e32 v144, 0xbe11bafb, v105
	v_add_f32_e32 v45, v52, v45
	v_sub_f32_e32 v47, v104, v143
	v_add_f32_e32 v44, v49, v44
	v_add_f32_e32 v48, v141, v103
	v_add_f32_e32 v43, v43, v41
	v_add_f32_e32 v42, v42, v40
	v_mov_b32_e32 v49, 3
	v_fma_f32 v168, 0xbf27a4f4, v106, -v164
	v_fmac_f32_e32 v164, 0xbf27a4f4, v106
	v_add_f32_e32 v107, v108, v107
	v_fma_f32 v110, 0x3f575c64, v114, -v146
	v_add_f32_e32 v57, v144, v112
	v_fmac_f32_e32 v151, 0x3f575c64, v106
	v_fma_f32 v157, 0xbe11bafb, v106, -v171
	v_fmac_f32_e32 v171, 0xbe11bafb, v106
	v_fmac_f32_e32 v166, 0x3ed4b147, v106
	v_add_f32_e32 v115, v175, v160
	v_add_f32_e32 v160, v173, v172
	;; [unrolled: 1-line block ×6, first 2 shown]
	v_lshlrev_b32_sdwa v42, v49, v86 dst_sel:DWORD dst_unused:UNUSED_PAD src0_sel:DWORD src1_sel:WORD_0
	v_add_f32_e32 v108, v164, v111
	v_add_f32_e32 v46, v110, v107
	;; [unrolled: 1-line block ×7, first 2 shown]
	ds_write2_b64 v42, v[36:37], v[40:41] offset1:1
	ds_write2_b64 v42, v[45:46], v[108:109] offset0:2 offset1:3
	ds_write2_b64 v42, v[118:119], v[116:117] offset0:4 offset1:5
	;; [unrolled: 1-line block ×4, first 2 shown]
	ds_write_b64 v42, v[38:39] offset:80
.LBB0_17:
	s_or_b32 exec_lo, exec_lo, s1
	v_add_nc_u32_e32 v58, 0x1200, v85
	v_add_nc_u32_e32 v36, 0x1c00, v85
	;; [unrolled: 1-line block ×3, first 2 shown]
	s_waitcnt lgkmcnt(0)
	s_barrier
	buffer_gl0_inv
	ds_read2_b64 v[42:45], v58 offset0:40 offset1:194
	ds_read2_b64 v[46:49], v36 offset0:28 offset1:182
	;; [unrolled: 1-line block ×3, first 2 shown]
	v_add_nc_u32_e32 v36, 0x800, v85
	ds_read2_b64 v[54:57], v85 offset1:154
	ds_read2_b64 v[95:98], v36 offset0:52 offset1:206
	s_waitcnt lgkmcnt(0)
	s_barrier
	buffer_gl0_inv
	v_mul_f32_e32 v40, v70, v47
	v_mul_f32_e32 v36, v68, v45
	;; [unrolled: 1-line block ×10, first 2 shown]
	v_fmac_f32_e32 v36, v67, v44
	v_fma_f32 v37, v67, v45, -v37
	v_fmac_f32_e32 v40, v69, v46
	v_fma_f32 v41, v69, v47, -v41
	;; [unrolled: 2-line block ×5, first 2 shown]
	v_sub_f32_e32 v44, v54, v36
	v_sub_f32_e32 v45, v55, v37
	;; [unrolled: 1-line block ×10, first 2 shown]
	v_fma_f32 v50, v54, 2.0, -v44
	v_fma_f32 v51, v55, 2.0, -v45
	;; [unrolled: 1-line block ×10, first 2 shown]
	ds_write2_b64 v93, v[50:51], v[44:45] offset1:11
	ds_write2_b64 v92, v[52:53], v[46:47] offset1:11
	;; [unrolled: 1-line block ×5, first 2 shown]
	v_add_nc_u32_e32 v48, 0xd00, v85
	v_add_nc_u32_e32 v49, 0x1b00, v85
	s_waitcnt lgkmcnt(0)
	s_barrier
	buffer_gl0_inv
	ds_read2_b64 v[44:47], v85 offset1:220
	ds_read2_b64 v[52:55], v48 offset0:24 offset1:244
	ds_read2_b64 v[48:51], v49 offset0:16 offset1:236
	ds_read_b64 v[56:57], v85 offset:10560
	s_and_saveexec_b32 s1, s0
	s_cbranch_execz .LBB0_19
; %bb.18:
	v_add_nc_u32_e32 v32, 0x400, v85
	v_add_nc_u32_e32 v33, 0x2000, v85
	ds_read2_b64 v[36:39], v58 offset0:18 offset1:238
	ds_read2_b64 v[40:43], v32 offset0:26 offset1:246
	ds_read2_b64 v[32:35], v33 offset0:10 offset1:230
	ds_read_b64 v[81:82], v85 offset:11792
.LBB0_19:
	s_or_b32 exec_lo, exec_lo, s1
	s_waitcnt lgkmcnt(3)
	v_mul_f32_e32 v58, v21, v47
	v_mul_f32_e32 v21, v21, v46
	s_waitcnt lgkmcnt(2)
	v_mul_f32_e32 v59, v23, v53
	v_mul_f32_e32 v23, v23, v52
	s_waitcnt lgkmcnt(0)
	v_fmac_f32_e32 v58, v20, v46
	v_fma_f32 v20, v20, v47, -v21
	v_mul_f32_e32 v21, v17, v55
	v_mul_f32_e32 v17, v17, v54
	v_fmac_f32_e32 v59, v22, v52
	v_fma_f32 v22, v22, v53, -v23
	v_mul_f32_e32 v23, v13, v51
	v_fmac_f32_e32 v21, v16, v54
	v_fma_f32 v16, v16, v55, -v17
	v_mul_f32_e32 v17, v15, v57
	v_mul_f32_e32 v15, v15, v56
	;; [unrolled: 1-line block ×5, first 2 shown]
	v_fmac_f32_e32 v17, v14, v56
	v_fma_f32 v14, v14, v57, -v15
	v_fmac_f32_e32 v23, v12, v50
	v_fma_f32 v12, v12, v51, -v13
	;; [unrolled: 2-line block ×3, first 2 shown]
	v_add_f32_e32 v13, v58, v17
	v_add_f32_e32 v18, v20, v14
	v_sub_f32_e32 v14, v20, v14
	v_add_f32_e32 v19, v59, v23
	v_add_f32_e32 v20, v22, v12
	v_sub_f32_e32 v23, v59, v23
	v_sub_f32_e32 v12, v22, v12
	v_add_f32_e32 v22, v21, v46
	v_add_f32_e32 v47, v16, v15
	v_sub_f32_e32 v21, v46, v21
	;; [unrolled: 4-line block ×3, first 2 shown]
	v_sub_f32_e32 v48, v19, v13
	v_sub_f32_e32 v49, v20, v18
	;; [unrolled: 1-line block ×6, first 2 shown]
	v_add_f32_e32 v13, v21, v23
	v_add_f32_e32 v51, v15, v12
	v_sub_f32_e32 v52, v21, v23
	v_sub_f32_e32 v53, v15, v12
	v_add_f32_e32 v16, v22, v16
	v_add_f32_e32 v22, v47, v46
	v_sub_f32_e32 v23, v23, v17
	v_sub_f32_e32 v46, v12, v14
	;; [unrolled: 1-line block ×4, first 2 shown]
	v_add_f32_e32 v17, v13, v17
	v_add_f32_e32 v14, v51, v14
	v_add_f32_e32 v12, v44, v16
	v_add_f32_e32 v13, v45, v22
	v_mul_f32_e32 v44, 0x3f4a47b2, v50
	v_mul_f32_e32 v18, 0x3f4a47b2, v18
	;; [unrolled: 1-line block ×8, first 2 shown]
	v_fmamk_f32 v16, v16, 0xbf955555, v12
	v_fmamk_f32 v22, v22, 0xbf955555, v13
	;; [unrolled: 1-line block ×4, first 2 shown]
	v_fma_f32 v45, 0x3f3bfb3b, v48, -v45
	v_fma_f32 v47, 0x3f3bfb3b, v49, -v47
	;; [unrolled: 1-line block ×4, first 2 shown]
	v_fmamk_f32 v48, v21, 0xbeae86e6, v50
	v_fmamk_f32 v49, v15, 0xbeae86e6, v51
	v_fma_f32 v23, 0xbf5ff5aa, v23, -v50
	v_fma_f32 v46, 0xbf5ff5aa, v46, -v51
	;; [unrolled: 1-line block ×4, first 2 shown]
	v_add_f32_e32 v52, v19, v16
	v_add_f32_e32 v53, v20, v22
	v_fmac_f32_e32 v48, 0xbee1c552, v17
	v_fmac_f32_e32 v49, 0xbee1c552, v14
	v_add_f32_e32 v20, v45, v16
	v_add_f32_e32 v21, v47, v22
	;; [unrolled: 1-line block ×4, first 2 shown]
	v_fmac_f32_e32 v23, 0xbee1c552, v17
	v_fmac_f32_e32 v51, 0xbee1c552, v14
	;; [unrolled: 1-line block ×4, first 2 shown]
	v_add_f32_e32 v14, v49, v52
	v_sub_f32_e32 v15, v53, v48
	v_add_f32_e32 v16, v51, v44
	v_sub_f32_e32 v17, v45, v50
	v_sub_f32_e32 v18, v20, v46
	v_add_f32_e32 v19, v23, v21
	v_add_f32_e32 v20, v46, v20
	v_sub_f32_e32 v21, v21, v23
	v_sub_f32_e32 v22, v44, v51
	v_add_f32_e32 v23, v50, v45
	v_sub_f32_e32 v44, v52, v49
	v_add_f32_e32 v45, v48, v53
	s_barrier
	buffer_gl0_inv
	ds_write2_b64 v94, v[12:13], v[14:15] offset1:22
	ds_write2_b64 v94, v[16:17], v[18:19] offset0:44 offset1:66
	ds_write2_b64 v94, v[20:21], v[22:23] offset0:88 offset1:110
	ds_write_b64 v94, v[44:45] offset:1056
	s_and_saveexec_b32 s1, s0
	s_cbranch_execz .LBB0_21
; %bb.20:
	v_mul_f32_e32 v13, v7, v82
	v_mul_f32_e32 v7, v7, v81
	v_mul_f32_e32 v12, v9, v43
	v_mul_f32_e32 v14, v3, v33
	v_mul_f32_e32 v15, v1, v39
	v_fmac_f32_e32 v13, v6, v81
	v_mul_f32_e32 v16, v11, v37
	v_mul_f32_e32 v17, v5, v35
	;; [unrolled: 1-line block ×3, first 2 shown]
	v_fma_f32 v6, v6, v82, -v7
	v_mul_f32_e32 v5, v5, v34
	v_mul_f32_e32 v7, v11, v36
	v_fmac_f32_e32 v12, v8, v42
	v_fmac_f32_e32 v14, v2, v32
	;; [unrolled: 1-line block ×5, first 2 shown]
	v_fma_f32 v8, v8, v43, -v9
	v_mul_f32_e32 v1, v1, v38
	v_mul_f32_e32 v3, v3, v32
	v_fma_f32 v4, v4, v35, -v5
	v_fma_f32 v5, v10, v37, -v7
	v_sub_f32_e32 v19, v14, v15
	v_sub_f32_e32 v7, v16, v17
	v_fma_f32 v0, v0, v39, -v1
	v_fma_f32 v2, v2, v33, -v3
	v_add_f32_e32 v9, v6, v8
	v_add_f32_e32 v10, v4, v5
	v_sub_f32_e32 v18, v12, v13
	v_sub_f32_e32 v1, v19, v7
	v_add_f32_e32 v3, v0, v2
	v_add_f32_e32 v12, v13, v12
	;; [unrolled: 1-line block ×3, first 2 shown]
	v_sub_f32_e32 v11, v18, v19
	v_mul_f32_e32 v21, 0x3f08b237, v1
	v_sub_f32_e32 v1, v9, v3
	v_add_f32_e32 v19, v19, v7
	v_add_f32_e32 v20, v3, v20
	;; [unrolled: 1-line block ×3, first 2 shown]
	v_sub_f32_e32 v2, v2, v0
	v_sub_f32_e32 v4, v5, v4
	;; [unrolled: 1-line block ×3, first 2 shown]
	v_mul_f32_e32 v23, 0x3f4a47b2, v1
	v_sub_f32_e32 v3, v3, v10
	v_add_f32_e32 v1, v41, v20
	v_add_f32_e32 v16, v19, v18
	;; [unrolled: 1-line block ×4, first 2 shown]
	v_sub_f32_e32 v8, v2, v4
	v_sub_f32_e32 v33, v6, v2
	;; [unrolled: 1-line block ×3, first 2 shown]
	v_add_f32_e32 v2, v2, v4
	v_fmamk_f32 v17, v3, 0x3d64c772, v23
	v_fmamk_f32 v15, v20, 0xbf955555, v1
	v_mul_f32_e32 v20, 0x3d64c772, v3
	v_sub_f32_e32 v3, v12, v14
	v_add_f32_e32 v19, v14, v19
	v_mul_f32_e32 v34, 0xbf5ff5aa, v7
	v_sub_f32_e32 v4, v4, v6
	v_add_f32_e32 v2, v2, v6
	v_sub_f32_e32 v6, v10, v9
	v_fmamk_f32 v22, v11, 0xbeae86e6, v21
	v_mul_f32_e32 v5, 0x3f4a47b2, v3
	v_sub_f32_e32 v14, v14, v13
	v_add_f32_e32 v0, v40, v19
	v_sub_f32_e32 v9, v13, v12
	v_fma_f32 v10, 0x3eae86e6, v11, -v34
	v_mul_f32_e32 v11, 0xbf5ff5aa, v4
	v_fma_f32 v12, 0xbf3bfb3b, v6, -v23
	v_fmamk_f32 v32, v14, 0x3d64c772, v5
	v_fmamk_f32 v19, v19, 0xbf955555, v0
	v_mul_f32_e32 v8, 0x3f08b237, v8
	v_mul_f32_e32 v14, 0x3d64c772, v14
	v_fma_f32 v23, 0x3eae86e6, v33, -v11
	v_fma_f32 v6, 0x3f3bfb3b, v6, -v20
	v_add_f32_e32 v11, v12, v15
	v_fma_f32 v12, 0xbf5ff5aa, v7, -v21
	v_add_f32_e32 v17, v17, v15
	v_add_f32_e32 v18, v32, v19
	v_fmamk_f32 v32, v33, 0xbeae86e6, v8
	v_add_f32_e32 v6, v6, v15
	v_fma_f32 v15, 0xbf5ff5aa, v4, -v8
	v_fma_f32 v7, 0x3f3bfb3b, v9, -v14
	v_fmac_f32_e32 v12, 0xbee1c552, v16
	v_fma_f32 v5, 0xbf3bfb3b, v9, -v5
	v_fmac_f32_e32 v22, 0xbee1c552, v16
	v_fmac_f32_e32 v32, 0xbee1c552, v2
	v_fmac_f32_e32 v23, 0xbee1c552, v2
	v_fmac_f32_e32 v15, 0xbee1c552, v2
	v_add_f32_e32 v2, v7, v19
	v_sub_f32_e32 v7, v6, v12
	v_add_f32_e32 v9, v12, v6
	v_mad_u16 v6, 0x9a, v87, v88
	v_mov_b32_e32 v14, 3
	v_fmac_f32_e32 v10, 0xbee1c552, v16
	v_add_f32_e32 v20, v5, v19
	v_sub_f32_e32 v13, v17, v22
	v_add_f32_e32 v12, v32, v18
	v_lshlrev_b32_sdwa v14, v14, v6 dst_sel:DWORD dst_unused:UNUSED_PAD src0_sel:DWORD src1_sel:WORD_0
	v_add_f32_e32 v5, v10, v11
	v_sub_f32_e32 v8, v2, v15
	v_sub_f32_e32 v11, v11, v10
	v_add_f32_e32 v10, v23, v20
	v_sub_f32_e32 v4, v20, v23
	v_add_f32_e32 v6, v15, v2
	v_add_f32_e32 v3, v22, v17
	v_sub_f32_e32 v2, v18, v32
	ds_write2_b64 v14, v[0:1], v[12:13] offset1:22
	ds_write2_b64 v14, v[10:11], v[8:9] offset0:44 offset1:66
	ds_write2_b64 v14, v[6:7], v[4:5] offset0:88 offset1:110
	ds_write_b64 v14, v[2:3] offset:1056
.LBB0_21:
	s_or_b32 exec_lo, exec_lo, s1
	v_add_nc_u32_e32 v22, 0x800, v85
	v_add_nc_u32_e32 v23, 0x1200, v85
	;; [unrolled: 1-line block ×4, first 2 shown]
	s_waitcnt lgkmcnt(0)
	s_barrier
	buffer_gl0_inv
	ds_read2_b64 v[0:3], v22 offset0:52 offset1:206
	ds_read2_b64 v[4:7], v23 offset0:40 offset1:194
	;; [unrolled: 1-line block ×4, first 2 shown]
	ds_read2_b64 v[16:19], v85 offset1:154
	s_waitcnt lgkmcnt(0)
	s_barrier
	buffer_gl0_inv
	v_mul_f32_e32 v34, v31, v5
	v_mul_f32_e32 v36, v25, v9
	;; [unrolled: 1-line block ×11, first 2 shown]
	v_fmac_f32_e32 v20, v28, v0
	v_fmac_f32_e32 v34, v30, v4
	;; [unrolled: 1-line block ×3, first 2 shown]
	v_mul_f32_e32 v37, v25, v8
	v_fma_f32 v21, v28, v1, -v21
	v_fma_f32 v35, v30, v5, -v35
	v_fmac_f32_e32 v38, v26, v12
	v_fma_f32 v12, v26, v13, -v39
	v_fmac_f32_e32 v40, v28, v2
	;; [unrolled: 2-line block ×3, first 2 shown]
	v_fma_f32 v29, v30, v7, -v31
	v_add_f32_e32 v0, v34, v36
	v_mul_f32_e32 v30, v25, v11
	v_mul_f32_e32 v1, v25, v10
	v_add_f32_e32 v2, v16, v20
	v_fma_f32 v37, v24, v9, -v37
	v_fma_f32 v0, -0.5, v0, v16
	v_sub_f32_e32 v3, v21, v12
	v_fmac_f32_e32 v30, v24, v10
	v_fma_f32 v24, v24, v11, -v1
	v_add_f32_e32 v1, v2, v34
	v_sub_f32_e32 v4, v20, v34
	v_sub_f32_e32 v6, v38, v36
	v_add_f32_e32 v7, v20, v38
	v_fmamk_f32 v2, v3, 0xbf737871, v0
	v_sub_f32_e32 v5, v35, v37
	v_mul_f32_e32 v8, v27, v14
	v_add_f32_e32 v1, v1, v36
	v_add_f32_e32 v9, v4, v6
	v_fma_f32 v4, -0.5, v7, v16
	v_fmac_f32_e32 v0, 0x3f737871, v3
	v_add_f32_e32 v10, v17, v21
	v_mul_f32_e32 v13, v27, v15
	v_fmac_f32_e32 v2, 0xbf167918, v5
	v_fma_f32 v15, v26, v15, -v8
	v_add_f32_e32 v6, v1, v38
	v_fmamk_f32 v8, v5, 0x3f737871, v4
	v_sub_f32_e32 v1, v34, v20
	v_sub_f32_e32 v7, v36, v38
	v_fmac_f32_e32 v0, 0x3f167918, v5
	v_add_f32_e32 v11, v35, v37
	v_fmac_f32_e32 v4, 0xbf737871, v5
	v_add_f32_e32 v5, v10, v35
	v_fmac_f32_e32 v13, v26, v14
	v_fmac_f32_e32 v2, 0x3e9e377a, v9
	;; [unrolled: 1-line block ×3, first 2 shown]
	v_add_f32_e32 v7, v1, v7
	v_fma_f32 v1, -0.5, v11, v17
	v_sub_f32_e32 v11, v20, v38
	v_fmac_f32_e32 v0, 0x3e9e377a, v9
	v_fmac_f32_e32 v4, 0x3f167918, v3
	v_add_f32_e32 v9, v5, v37
	v_add_f32_e32 v5, v21, v12
	v_sub_f32_e32 v14, v21, v35
	v_sub_f32_e32 v16, v12, v37
	v_fmac_f32_e32 v8, 0x3e9e377a, v7
	v_fmamk_f32 v3, v11, 0x3f737871, v1
	v_sub_f32_e32 v10, v34, v36
	v_fmac_f32_e32 v4, 0x3e9e377a, v7
	v_fma_f32 v5, -0.5, v5, v17
	v_add_f32_e32 v7, v9, v12
	v_add_f32_e32 v14, v14, v16
	v_fmac_f32_e32 v1, 0xbf737871, v11
	v_sub_f32_e32 v16, v35, v21
	v_sub_f32_e32 v12, v37, v12
	v_add_f32_e32 v17, v41, v30
	v_fmac_f32_e32 v3, 0x3f167918, v10
	v_fmamk_f32 v9, v10, 0xbf737871, v5
	v_fmac_f32_e32 v1, 0xbf167918, v10
	v_add_f32_e32 v16, v16, v12
	v_fmac_f32_e32 v5, 0x3f737871, v10
	v_add_f32_e32 v12, v18, v40
	v_fma_f32 v10, -0.5, v17, v18
	v_sub_f32_e32 v17, v28, v15
	v_add_f32_e32 v25, v40, v13
	v_fmac_f32_e32 v3, 0x3e9e377a, v14
	v_fmac_f32_e32 v9, 0x3f167918, v11
	;; [unrolled: 1-line block ×4, first 2 shown]
	v_add_f32_e32 v11, v12, v41
	v_fmamk_f32 v12, v17, 0xbf737871, v10
	v_sub_f32_e32 v20, v29, v24
	v_sub_f32_e32 v14, v40, v41
	;; [unrolled: 1-line block ×3, first 2 shown]
	v_fmac_f32_e32 v10, 0x3f737871, v17
	v_fma_f32 v18, -0.5, v25, v18
	v_fmac_f32_e32 v9, 0x3e9e377a, v16
	v_add_f32_e32 v11, v11, v30
	v_fmac_f32_e32 v12, 0xbf167918, v20
	v_add_f32_e32 v21, v14, v21
	v_fmac_f32_e32 v10, 0x3f167918, v20
	v_fmac_f32_e32 v5, 0x3e9e377a, v16
	v_fmamk_f32 v16, v20, 0x3f737871, v18
	v_fmac_f32_e32 v18, 0xbf737871, v20
	v_add_f32_e32 v20, v19, v28
	v_add_f32_e32 v14, v11, v13
	v_fmac_f32_e32 v12, 0x3e9e377a, v21
	v_fmac_f32_e32 v10, 0x3e9e377a, v21
	v_add_f32_e32 v11, v29, v24
	v_sub_f32_e32 v21, v41, v40
	v_sub_f32_e32 v25, v30, v13
	v_fmac_f32_e32 v16, 0xbf167918, v17
	v_fmac_f32_e32 v18, 0x3f167918, v17
	v_add_f32_e32 v17, v20, v29
	v_add_f32_e32 v20, v28, v15
	v_fma_f32 v11, -0.5, v11, v19
	v_sub_f32_e32 v26, v40, v13
	v_add_f32_e32 v21, v21, v25
	v_sub_f32_e32 v25, v41, v30
	v_fmac_f32_e32 v19, -0.5, v20
	v_sub_f32_e32 v20, v28, v29
	v_fmamk_f32 v13, v26, 0x3f737871, v11
	v_fmac_f32_e32 v16, 0x3e9e377a, v21
	v_fmac_f32_e32 v18, 0x3e9e377a, v21
	v_add_f32_e32 v21, v17, v24
	v_sub_f32_e32 v27, v15, v24
	v_fmamk_f32 v17, v25, 0xbf737871, v19
	v_sub_f32_e32 v28, v29, v28
	v_sub_f32_e32 v24, v24, v15
	v_fmac_f32_e32 v11, 0xbf737871, v26
	v_fmac_f32_e32 v19, 0x3f737871, v25
	;; [unrolled: 1-line block ×3, first 2 shown]
	v_add_f32_e32 v20, v20, v27
	v_fmac_f32_e32 v17, 0x3f167918, v26
	v_add_f32_e32 v24, v28, v24
	v_fmac_f32_e32 v11, 0xbf167918, v25
	v_fmac_f32_e32 v19, 0xbf167918, v26
	v_add_f32_e32 v15, v21, v15
	v_fmac_f32_e32 v13, 0x3e9e377a, v20
	v_fmac_f32_e32 v17, 0x3e9e377a, v24
	;; [unrolled: 1-line block ×4, first 2 shown]
	ds_write2_b64 v85, v[6:7], v[2:3] offset1:154
	ds_write2_b64 v22, v[8:9], v[4:5] offset0:52 offset1:206
	ds_write2_b64 v23, v[0:1], v[14:15] offset0:40 offset1:194
	;; [unrolled: 1-line block ×4, first 2 shown]
	s_waitcnt lgkmcnt(0)
	s_barrier
	buffer_gl0_inv
	ds_read2_b64 v[0:3], v23 offset0:40 offset1:194
	ds_read2_b64 v[4:7], v32 offset0:28 offset1:182
	;; [unrolled: 1-line block ×3, first 2 shown]
	ds_read2_b64 v[12:15], v85 offset1:154
	ds_read2_b64 v[16:19], v22 offset0:52 offset1:206
	s_waitcnt lgkmcnt(4)
	v_mul_f32_e32 v20, v76, v3
	v_mul_f32_e32 v21, v76, v2
	s_waitcnt lgkmcnt(3)
	v_mul_f32_e32 v24, v72, v5
	v_mul_f32_e32 v25, v72, v4
	;; [unrolled: 1-line block ×3, first 2 shown]
	v_fmac_f32_e32 v20, v75, v2
	v_fma_f32 v3, v75, v3, -v21
	v_fmac_f32_e32 v24, v71, v4
	v_fma_f32 v5, v71, v5, -v25
	v_mul_f32_e32 v2, v80, v6
	s_waitcnt lgkmcnt(2)
	v_mul_f32_e32 v21, v78, v9
	v_mul_f32_e32 v4, v78, v8
	v_fmac_f32_e32 v26, v79, v6
	v_mul_f32_e32 v25, v74, v11
	v_mul_f32_e32 v6, v74, v10
	v_fma_f32 v27, v79, v7, -v2
	v_fmac_f32_e32 v21, v77, v8
	v_fma_f32 v28, v77, v9, -v4
	s_waitcnt lgkmcnt(1)
	v_sub_f32_e32 v4, v14, v24
	v_sub_f32_e32 v5, v15, v5
	v_fmac_f32_e32 v25, v73, v10
	v_fma_f32 v29, v73, v11, -v6
	v_sub_f32_e32 v2, v12, v20
	v_sub_f32_e32 v3, v13, v3
	s_waitcnt lgkmcnt(0)
	v_sub_f32_e32 v8, v16, v26
	v_fma_f32 v10, v14, 2.0, -v4
	v_fma_f32 v11, v15, 2.0, -v5
	v_sub_f32_e32 v9, v17, v27
	v_sub_f32_e32 v14, v18, v21
	;; [unrolled: 1-line block ×5, first 2 shown]
	v_fma_f32 v6, v12, 2.0, -v2
	v_fma_f32 v7, v13, 2.0, -v3
	;; [unrolled: 1-line block ×8, first 2 shown]
	ds_write2_b64 v85, v[6:7], v[10:11] offset1:154
	ds_write2_b64 v32, v[4:5], v[8:9] offset0:28 offset1:182
	ds_write2_b64 v22, v[12:13], v[16:17] offset0:52 offset1:206
	;; [unrolled: 1-line block ×4, first 2 shown]
	s_waitcnt lgkmcnt(0)
	s_barrier
	buffer_gl0_inv
	s_and_b32 exec_lo, exec_lo, vcc_lo
	s_cbranch_execz .LBB0_23
; %bb.22:
	v_add_co_u32 v6, s0, s14, v83
	v_add_co_ci_u32_e64 v7, null, s15, 0, s0
	s_clause 0x1
	global_load_dwordx2 v[20:21], v83, s[14:15]
	global_load_dwordx2 v[22:23], v83, s[14:15] offset:1120
	v_add_co_u32 v0, vcc_lo, 0x800, v6
	v_add_co_ci_u32_e32 v1, vcc_lo, 0, v7, vcc_lo
	v_add_co_u32 v2, vcc_lo, 0x1000, v6
	v_add_co_ci_u32_e32 v3, vcc_lo, 0, v7, vcc_lo
	;; [unrolled: 2-line block ×3, first 2 shown]
	s_clause 0x1
	global_load_dwordx2 v[24:25], v[0:1], off offset:192
	global_load_dwordx2 v[26:27], v[0:1], off offset:1312
	v_add_co_u32 v0, vcc_lo, 0x2000, v6
	v_add_co_ci_u32_e32 v1, vcc_lo, 0, v7, vcc_lo
	s_clause 0x3
	global_load_dwordx2 v[28:29], v[2:3], off offset:384
	global_load_dwordx2 v[30:31], v[2:3], off offset:1504
	;; [unrolled: 1-line block ×4, first 2 shown]
	v_add_co_u32 v2, vcc_lo, 0x2800, v6
	v_add_co_ci_u32_e32 v3, vcc_lo, 0, v7, vcc_lo
	s_clause 0x2
	global_load_dwordx2 v[36:37], v[0:1], off offset:768
	global_load_dwordx2 v[38:39], v[0:1], off offset:1888
	;; [unrolled: 1-line block ×3, first 2 shown]
	v_mad_u64_u32 v[0:1], null, s6, v60, 0
	v_mad_u64_u32 v[2:3], null, s4, v84, 0
	ds_read_b64 v[42:43], v85
	v_add_nc_u32_e32 v8, 0x1400, v83
	v_add_nc_u32_e32 v12, 0x1c00, v83
	v_add_nc_u32_e32 v16, 0x2400, v83
	s_mul_i32 s2, s5, 0x460
	s_mul_hi_u32 s3, s4, 0x460
	v_mad_u64_u32 v[4:5], null, s7, v60, v[1:2]
	ds_read2_b64 v[8:11], v8 offset0:60 offset1:200
	ds_read2_b64 v[12:15], v12 offset0:84 offset1:224
	;; [unrolled: 1-line block ×3, first 2 shown]
	s_mulk_i32 s4, 0x460
	s_mov_b32 s0, 0xe6bb82fe
	s_add_i32 s3, s3, s2
	v_mad_u64_u32 v[5:6], null, s5, v84, v[3:4]
	v_mov_b32_e32 v1, v4
	v_add_nc_u32_e32 v6, 0x400, v83
	v_add_nc_u32_e32 v4, 0xc00, v83
	s_mov_b32 s1, 0x3f454725
	v_lshlrev_b64 v[0:1], 3, v[0:1]
	v_mov_b32_e32 v3, v5
	v_lshlrev_b64 v[2:3], 3, v[2:3]
	v_add_co_u32 v0, vcc_lo, s12, v0
	v_add_co_ci_u32_e32 v1, vcc_lo, s13, v1, vcc_lo
	v_add_co_u32 v44, vcc_lo, v0, v2
	v_add_co_ci_u32_e32 v45, vcc_lo, v1, v3, vcc_lo
	ds_read2_b64 v[0:3], v6 offset0:12 offset1:152
	ds_read2_b64 v[4:7], v4 offset0:36 offset1:176
	v_add_co_u32 v46, vcc_lo, v44, s4
	v_add_co_ci_u32_e32 v47, vcc_lo, s3, v45, vcc_lo
	v_add_co_u32 v48, vcc_lo, v46, s4
	v_add_co_ci_u32_e32 v49, vcc_lo, s3, v47, vcc_lo
	;; [unrolled: 2-line block ×6, first 2 shown]
	s_waitcnt vmcnt(10) lgkmcnt(5)
	v_mul_f32_e32 v58, v43, v21
	v_mul_f32_e32 v21, v42, v21
	s_waitcnt vmcnt(9) lgkmcnt(1)
	v_mul_f32_e32 v59, v1, v23
	v_mul_f32_e32 v23, v0, v23
	v_fmac_f32_e32 v58, v42, v20
	v_fma_f32 v42, v20, v43, -v21
	v_fmac_f32_e32 v59, v0, v22
	v_fma_f32 v60, v22, v1, -v23
	v_add_co_u32 v0, vcc_lo, v56, s4
	v_cvt_f64_f32_e32 v[20:21], v58
	v_cvt_f64_f32_e32 v[22:23], v42
	;; [unrolled: 1-line block ×4, first 2 shown]
	s_waitcnt vmcnt(8)
	v_mul_f32_e32 v60, v3, v25
	v_mul_f32_e32 v25, v2, v25
	s_waitcnt vmcnt(7) lgkmcnt(0)
	v_mul_f32_e32 v61, v5, v27
	v_mul_f32_e32 v27, v4, v27
	s_waitcnt vmcnt(6)
	v_mul_f32_e32 v62, v7, v29
	v_mul_f32_e32 v29, v6, v29
	s_waitcnt vmcnt(5)
	;; [unrolled: 3-line block ×4, first 2 shown]
	v_mul_f32_e32 v65, v13, v35
	v_mul_f32_e32 v35, v12, v35
	v_fmac_f32_e32 v60, v2, v24
	v_fma_f32 v24, v24, v3, -v25
	s_waitcnt vmcnt(2)
	v_mul_f32_e32 v66, v15, v37
	v_mul_f32_e32 v37, v14, v37
	v_fmac_f32_e32 v61, v4, v26
	v_fma_f32 v25, v26, v5, -v27
	s_waitcnt vmcnt(1)
	;; [unrolled: 5-line block ×3, first 2 shown]
	v_mul_f32_e32 v68, v19, v41
	v_mul_f32_e32 v41, v18, v41
	v_fmac_f32_e32 v63, v8, v30
	v_fma_f32 v27, v30, v9, -v31
	v_fmac_f32_e32 v64, v10, v32
	v_fma_f32 v28, v32, v11, -v33
	;; [unrolled: 2-line block ×3, first 2 shown]
	v_cvt_f64_f32_e32 v[2:3], v60
	v_cvt_f64_f32_e32 v[4:5], v24
	v_fmac_f32_e32 v66, v14, v36
	v_fma_f32 v32, v36, v15, -v37
	v_cvt_f64_f32_e32 v[6:7], v61
	v_cvt_f64_f32_e32 v[8:9], v25
	v_fmac_f32_e32 v67, v16, v38
	v_fma_f32 v36, v38, v17, -v39
	;; [unrolled: 4-line block ×3, first 2 shown]
	v_cvt_f64_f32_e32 v[14:15], v63
	v_cvt_f64_f32_e32 v[16:17], v27
	;; [unrolled: 1-line block ×12, first 2 shown]
	v_mul_f64 v[20:21], v[20:21], s[0:1]
	v_mul_f64 v[22:23], v[22:23], s[0:1]
	;; [unrolled: 1-line block ×22, first 2 shown]
	v_cvt_f32_f64_e32 v20, v[20:21]
	v_cvt_f32_f64_e32 v21, v[22:23]
	;; [unrolled: 1-line block ×14, first 2 shown]
	v_add_co_ci_u32_e32 v1, vcc_lo, s3, v57, vcc_lo
	v_cvt_f32_f64_e32 v12, v[26:27]
	v_cvt_f32_f64_e32 v13, v[28:29]
	;; [unrolled: 1-line block ×8, first 2 shown]
	v_add_co_u32 v24, vcc_lo, v0, s4
	v_add_co_ci_u32_e32 v25, vcc_lo, s3, v1, vcc_lo
	v_add_co_u32 v26, vcc_lo, v24, s4
	v_add_co_ci_u32_e32 v27, vcc_lo, s3, v25, vcc_lo
	;; [unrolled: 2-line block ×3, first 2 shown]
	global_store_dwordx2 v[44:45], v[20:21], off
	global_store_dwordx2 v[46:47], v[22:23], off
	;; [unrolled: 1-line block ×11, first 2 shown]
.LBB0_23:
	s_endpgm
	.section	.rodata,"a",@progbits
	.p2align	6, 0x0
	.amdhsa_kernel bluestein_single_fwd_len1540_dim1_sp_op_CI_CI
		.amdhsa_group_segment_fixed_size 12320
		.amdhsa_private_segment_fixed_size 0
		.amdhsa_kernarg_size 104
		.amdhsa_user_sgpr_count 6
		.amdhsa_user_sgpr_private_segment_buffer 1
		.amdhsa_user_sgpr_dispatch_ptr 0
		.amdhsa_user_sgpr_queue_ptr 0
		.amdhsa_user_sgpr_kernarg_segment_ptr 1
		.amdhsa_user_sgpr_dispatch_id 0
		.amdhsa_user_sgpr_flat_scratch_init 0
		.amdhsa_user_sgpr_private_segment_size 0
		.amdhsa_wavefront_size32 1
		.amdhsa_uses_dynamic_stack 0
		.amdhsa_system_sgpr_private_segment_wavefront_offset 0
		.amdhsa_system_sgpr_workgroup_id_x 1
		.amdhsa_system_sgpr_workgroup_id_y 0
		.amdhsa_system_sgpr_workgroup_id_z 0
		.amdhsa_system_sgpr_workgroup_info 0
		.amdhsa_system_vgpr_workitem_id 0
		.amdhsa_next_free_vgpr 176
		.amdhsa_next_free_sgpr 16
		.amdhsa_reserve_vcc 1
		.amdhsa_reserve_flat_scratch 0
		.amdhsa_float_round_mode_32 0
		.amdhsa_float_round_mode_16_64 0
		.amdhsa_float_denorm_mode_32 3
		.amdhsa_float_denorm_mode_16_64 3
		.amdhsa_dx10_clamp 1
		.amdhsa_ieee_mode 1
		.amdhsa_fp16_overflow 0
		.amdhsa_workgroup_processor_mode 1
		.amdhsa_memory_ordered 1
		.amdhsa_forward_progress 0
		.amdhsa_shared_vgpr_count 0
		.amdhsa_exception_fp_ieee_invalid_op 0
		.amdhsa_exception_fp_denorm_src 0
		.amdhsa_exception_fp_ieee_div_zero 0
		.amdhsa_exception_fp_ieee_overflow 0
		.amdhsa_exception_fp_ieee_underflow 0
		.amdhsa_exception_fp_ieee_inexact 0
		.amdhsa_exception_int_div_zero 0
	.end_amdhsa_kernel
	.text
.Lfunc_end0:
	.size	bluestein_single_fwd_len1540_dim1_sp_op_CI_CI, .Lfunc_end0-bluestein_single_fwd_len1540_dim1_sp_op_CI_CI
                                        ; -- End function
	.section	.AMDGPU.csdata,"",@progbits
; Kernel info:
; codeLenInByte = 14368
; NumSgprs: 18
; NumVgprs: 176
; ScratchSize: 0
; MemoryBound: 0
; FloatMode: 240
; IeeeMode: 1
; LDSByteSize: 12320 bytes/workgroup (compile time only)
; SGPRBlocks: 2
; VGPRBlocks: 21
; NumSGPRsForWavesPerEU: 18
; NumVGPRsForWavesPerEU: 176
; Occupancy: 5
; WaveLimiterHint : 1
; COMPUTE_PGM_RSRC2:SCRATCH_EN: 0
; COMPUTE_PGM_RSRC2:USER_SGPR: 6
; COMPUTE_PGM_RSRC2:TRAP_HANDLER: 0
; COMPUTE_PGM_RSRC2:TGID_X_EN: 1
; COMPUTE_PGM_RSRC2:TGID_Y_EN: 0
; COMPUTE_PGM_RSRC2:TGID_Z_EN: 0
; COMPUTE_PGM_RSRC2:TIDIG_COMP_CNT: 0
	.text
	.p2alignl 6, 3214868480
	.fill 48, 4, 3214868480
	.type	__hip_cuid_ba2422fabca579f1,@object ; @__hip_cuid_ba2422fabca579f1
	.section	.bss,"aw",@nobits
	.globl	__hip_cuid_ba2422fabca579f1
__hip_cuid_ba2422fabca579f1:
	.byte	0                               ; 0x0
	.size	__hip_cuid_ba2422fabca579f1, 1

	.ident	"AMD clang version 19.0.0git (https://github.com/RadeonOpenCompute/llvm-project roc-6.4.0 25133 c7fe45cf4b819c5991fe208aaa96edf142730f1d)"
	.section	".note.GNU-stack","",@progbits
	.addrsig
	.addrsig_sym __hip_cuid_ba2422fabca579f1
	.amdgpu_metadata
---
amdhsa.kernels:
  - .args:
      - .actual_access:  read_only
        .address_space:  global
        .offset:         0
        .size:           8
        .value_kind:     global_buffer
      - .actual_access:  read_only
        .address_space:  global
        .offset:         8
        .size:           8
        .value_kind:     global_buffer
      - .actual_access:  read_only
        .address_space:  global
        .offset:         16
        .size:           8
        .value_kind:     global_buffer
      - .actual_access:  read_only
        .address_space:  global
        .offset:         24
        .size:           8
        .value_kind:     global_buffer
      - .actual_access:  read_only
        .address_space:  global
        .offset:         32
        .size:           8
        .value_kind:     global_buffer
      - .offset:         40
        .size:           8
        .value_kind:     by_value
      - .address_space:  global
        .offset:         48
        .size:           8
        .value_kind:     global_buffer
      - .address_space:  global
        .offset:         56
        .size:           8
        .value_kind:     global_buffer
      - .address_space:  global
        .offset:         64
        .size:           8
        .value_kind:     global_buffer
      - .address_space:  global
        .offset:         72
        .size:           8
        .value_kind:     global_buffer
      - .offset:         80
        .size:           4
        .value_kind:     by_value
      - .address_space:  global
        .offset:         88
        .size:           8
        .value_kind:     global_buffer
      - .address_space:  global
        .offset:         96
        .size:           8
        .value_kind:     global_buffer
    .group_segment_fixed_size: 12320
    .kernarg_segment_align: 8
    .kernarg_segment_size: 104
    .language:       OpenCL C
    .language_version:
      - 2
      - 0
    .max_flat_workgroup_size: 154
    .name:           bluestein_single_fwd_len1540_dim1_sp_op_CI_CI
    .private_segment_fixed_size: 0
    .sgpr_count:     18
    .sgpr_spill_count: 0
    .symbol:         bluestein_single_fwd_len1540_dim1_sp_op_CI_CI.kd
    .uniform_work_group_size: 1
    .uses_dynamic_stack: false
    .vgpr_count:     176
    .vgpr_spill_count: 0
    .wavefront_size: 32
    .workgroup_processor_mode: 1
amdhsa.target:   amdgcn-amd-amdhsa--gfx1030
amdhsa.version:
  - 1
  - 2
...

	.end_amdgpu_metadata
